;; amdgpu-corpus repo=ROCm/rocFFT kind=compiled arch=gfx1201 opt=O3
	.text
	.amdgcn_target "amdgcn-amd-amdhsa--gfx1201"
	.amdhsa_code_object_version 6
	.protected	fft_rtc_fwd_len1920_factors_10_6_16_2_wgs_240_tpt_120_halfLds_sp_ip_CI_unitstride_sbrr_C2R_dirReg ; -- Begin function fft_rtc_fwd_len1920_factors_10_6_16_2_wgs_240_tpt_120_halfLds_sp_ip_CI_unitstride_sbrr_C2R_dirReg
	.globl	fft_rtc_fwd_len1920_factors_10_6_16_2_wgs_240_tpt_120_halfLds_sp_ip_CI_unitstride_sbrr_C2R_dirReg
	.p2align	8
	.type	fft_rtc_fwd_len1920_factors_10_6_16_2_wgs_240_tpt_120_halfLds_sp_ip_CI_unitstride_sbrr_C2R_dirReg,@function
fft_rtc_fwd_len1920_factors_10_6_16_2_wgs_240_tpt_120_halfLds_sp_ip_CI_unitstride_sbrr_C2R_dirReg: ; @fft_rtc_fwd_len1920_factors_10_6_16_2_wgs_240_tpt_120_halfLds_sp_ip_CI_unitstride_sbrr_C2R_dirReg
; %bb.0:
	s_clause 0x2
	s_load_b128 s[4:7], s[0:1], 0x0
	s_load_b64 s[8:9], s[0:1], 0x50
	s_load_b64 s[10:11], s[0:1], 0x18
	v_mul_u32_u24_e32 v1, 0x223, v0
	v_mov_b32_e32 v3, 0
	s_delay_alu instid0(VALU_DEP_2) | instskip(SKIP_2) | instid1(VALU_DEP_4)
	v_lshrrev_b32_e32 v9, 16, v1
	v_mov_b32_e32 v1, 0
	v_mov_b32_e32 v2, 0
	;; [unrolled: 1-line block ×3, first 2 shown]
	s_delay_alu instid0(VALU_DEP_4) | instskip(SKIP_2) | instid1(VALU_DEP_1)
	v_lshl_add_u32 v5, ttmp9, 1, v9
	s_wait_kmcnt 0x0
	v_cmp_lt_u64_e64 s2, s[6:7], 2
	s_and_b32 vcc_lo, exec_lo, s2
	s_cbranch_vccnz .LBB0_8
; %bb.1:
	s_load_b64 s[2:3], s[0:1], 0x10
	v_mov_b32_e32 v1, 0
	v_mov_b32_e32 v2, 0
	s_add_nc_u64 s[12:13], s[10:11], 8
	s_mov_b64 s[14:15], 1
	s_wait_kmcnt 0x0
	s_add_nc_u64 s[16:17], s[2:3], 8
	s_mov_b32 s3, 0
.LBB0_2:                                ; =>This Inner Loop Header: Depth=1
	s_load_b64 s[18:19], s[16:17], 0x0
                                        ; implicit-def: $vgpr7_vgpr8
	s_mov_b32 s2, exec_lo
	s_wait_kmcnt 0x0
	v_or_b32_e32 v4, s19, v6
	s_delay_alu instid0(VALU_DEP_1)
	v_cmpx_ne_u64_e32 0, v[3:4]
	s_wait_alu 0xfffe
	s_xor_b32 s20, exec_lo, s2
	s_cbranch_execz .LBB0_4
; %bb.3:                                ;   in Loop: Header=BB0_2 Depth=1
	s_cvt_f32_u32 s2, s18
	s_cvt_f32_u32 s21, s19
	s_sub_nc_u64 s[24:25], 0, s[18:19]
	s_wait_alu 0xfffe
	s_delay_alu instid0(SALU_CYCLE_1) | instskip(SKIP_1) | instid1(SALU_CYCLE_2)
	s_fmamk_f32 s2, s21, 0x4f800000, s2
	s_wait_alu 0xfffe
	v_s_rcp_f32 s2, s2
	s_delay_alu instid0(TRANS32_DEP_1) | instskip(SKIP_1) | instid1(SALU_CYCLE_2)
	s_mul_f32 s2, s2, 0x5f7ffffc
	s_wait_alu 0xfffe
	s_mul_f32 s21, s2, 0x2f800000
	s_wait_alu 0xfffe
	s_delay_alu instid0(SALU_CYCLE_2) | instskip(SKIP_1) | instid1(SALU_CYCLE_2)
	s_trunc_f32 s21, s21
	s_wait_alu 0xfffe
	s_fmamk_f32 s2, s21, 0xcf800000, s2
	s_cvt_u32_f32 s23, s21
	s_wait_alu 0xfffe
	s_delay_alu instid0(SALU_CYCLE_1) | instskip(SKIP_1) | instid1(SALU_CYCLE_2)
	s_cvt_u32_f32 s22, s2
	s_wait_alu 0xfffe
	s_mul_u64 s[26:27], s[24:25], s[22:23]
	s_wait_alu 0xfffe
	s_mul_hi_u32 s29, s22, s27
	s_mul_i32 s28, s22, s27
	s_mul_hi_u32 s2, s22, s26
	s_mul_i32 s30, s23, s26
	s_wait_alu 0xfffe
	s_add_nc_u64 s[28:29], s[2:3], s[28:29]
	s_mul_hi_u32 s21, s23, s26
	s_mul_hi_u32 s31, s23, s27
	s_add_co_u32 s2, s28, s30
	s_wait_alu 0xfffe
	s_add_co_ci_u32 s2, s29, s21
	s_mul_i32 s26, s23, s27
	s_add_co_ci_u32 s27, s31, 0
	s_wait_alu 0xfffe
	s_add_nc_u64 s[26:27], s[2:3], s[26:27]
	s_wait_alu 0xfffe
	v_add_co_u32 v4, s2, s22, s26
	s_delay_alu instid0(VALU_DEP_1) | instskip(SKIP_1) | instid1(VALU_DEP_1)
	s_cmp_lg_u32 s2, 0
	s_add_co_ci_u32 s23, s23, s27
	v_readfirstlane_b32 s22, v4
	s_wait_alu 0xfffe
	s_delay_alu instid0(VALU_DEP_1)
	s_mul_u64 s[24:25], s[24:25], s[22:23]
	s_wait_alu 0xfffe
	s_mul_hi_u32 s27, s22, s25
	s_mul_i32 s26, s22, s25
	s_mul_hi_u32 s2, s22, s24
	s_mul_i32 s28, s23, s24
	s_wait_alu 0xfffe
	s_add_nc_u64 s[26:27], s[2:3], s[26:27]
	s_mul_hi_u32 s21, s23, s24
	s_mul_hi_u32 s22, s23, s25
	s_wait_alu 0xfffe
	s_add_co_u32 s2, s26, s28
	s_add_co_ci_u32 s2, s27, s21
	s_mul_i32 s24, s23, s25
	s_add_co_ci_u32 s25, s22, 0
	s_wait_alu 0xfffe
	s_add_nc_u64 s[24:25], s[2:3], s[24:25]
	s_wait_alu 0xfffe
	v_add_co_u32 v4, s2, v4, s24
	s_delay_alu instid0(VALU_DEP_1) | instskip(SKIP_1) | instid1(VALU_DEP_1)
	s_cmp_lg_u32 s2, 0
	s_add_co_ci_u32 s2, s23, s25
	v_mul_hi_u32 v14, v5, v4
	s_wait_alu 0xfffe
	v_mad_co_u64_u32 v[7:8], null, v5, s2, 0
	v_mad_co_u64_u32 v[10:11], null, v6, v4, 0
	;; [unrolled: 1-line block ×3, first 2 shown]
	s_delay_alu instid0(VALU_DEP_3) | instskip(SKIP_1) | instid1(VALU_DEP_4)
	v_add_co_u32 v4, vcc_lo, v14, v7
	s_wait_alu 0xfffd
	v_add_co_ci_u32_e32 v7, vcc_lo, 0, v8, vcc_lo
	s_delay_alu instid0(VALU_DEP_2) | instskip(SKIP_1) | instid1(VALU_DEP_2)
	v_add_co_u32 v4, vcc_lo, v4, v10
	s_wait_alu 0xfffd
	v_add_co_ci_u32_e32 v4, vcc_lo, v7, v11, vcc_lo
	s_wait_alu 0xfffd
	v_add_co_ci_u32_e32 v7, vcc_lo, 0, v13, vcc_lo
	s_delay_alu instid0(VALU_DEP_2) | instskip(SKIP_1) | instid1(VALU_DEP_2)
	v_add_co_u32 v4, vcc_lo, v4, v12
	s_wait_alu 0xfffd
	v_add_co_ci_u32_e32 v10, vcc_lo, 0, v7, vcc_lo
	s_delay_alu instid0(VALU_DEP_2) | instskip(SKIP_1) | instid1(VALU_DEP_3)
	v_mul_lo_u32 v11, s19, v4
	v_mad_co_u64_u32 v[7:8], null, s18, v4, 0
	v_mul_lo_u32 v12, s18, v10
	s_delay_alu instid0(VALU_DEP_2) | instskip(NEXT) | instid1(VALU_DEP_2)
	v_sub_co_u32 v7, vcc_lo, v5, v7
	v_add3_u32 v8, v8, v12, v11
	s_delay_alu instid0(VALU_DEP_1) | instskip(SKIP_1) | instid1(VALU_DEP_1)
	v_sub_nc_u32_e32 v11, v6, v8
	s_wait_alu 0xfffd
	v_subrev_co_ci_u32_e64 v11, s2, s19, v11, vcc_lo
	v_add_co_u32 v12, s2, v4, 2
	s_wait_alu 0xf1ff
	v_add_co_ci_u32_e64 v13, s2, 0, v10, s2
	v_sub_co_u32 v14, s2, v7, s18
	v_sub_co_ci_u32_e32 v8, vcc_lo, v6, v8, vcc_lo
	s_wait_alu 0xf1ff
	v_subrev_co_ci_u32_e64 v11, s2, 0, v11, s2
	s_delay_alu instid0(VALU_DEP_3) | instskip(NEXT) | instid1(VALU_DEP_3)
	v_cmp_le_u32_e32 vcc_lo, s18, v14
	v_cmp_eq_u32_e64 s2, s19, v8
	s_wait_alu 0xfffd
	v_cndmask_b32_e64 v14, 0, -1, vcc_lo
	v_cmp_le_u32_e32 vcc_lo, s19, v11
	s_wait_alu 0xfffd
	v_cndmask_b32_e64 v15, 0, -1, vcc_lo
	v_cmp_le_u32_e32 vcc_lo, s18, v7
	;; [unrolled: 3-line block ×3, first 2 shown]
	s_wait_alu 0xfffd
	v_cndmask_b32_e64 v16, 0, -1, vcc_lo
	v_cmp_eq_u32_e32 vcc_lo, s19, v11
	s_wait_alu 0xf1ff
	s_delay_alu instid0(VALU_DEP_2)
	v_cndmask_b32_e64 v7, v16, v7, s2
	s_wait_alu 0xfffd
	v_cndmask_b32_e32 v11, v15, v14, vcc_lo
	v_add_co_u32 v14, vcc_lo, v4, 1
	s_wait_alu 0xfffd
	v_add_co_ci_u32_e32 v15, vcc_lo, 0, v10, vcc_lo
	s_delay_alu instid0(VALU_DEP_3) | instskip(SKIP_1) | instid1(VALU_DEP_2)
	v_cmp_ne_u32_e32 vcc_lo, 0, v11
	s_wait_alu 0xfffd
	v_dual_cndmask_b32 v8, v15, v13 :: v_dual_cndmask_b32 v11, v14, v12
	v_cmp_ne_u32_e32 vcc_lo, 0, v7
	s_wait_alu 0xfffd
	s_delay_alu instid0(VALU_DEP_2)
	v_dual_cndmask_b32 v8, v10, v8 :: v_dual_cndmask_b32 v7, v4, v11
.LBB0_4:                                ;   in Loop: Header=BB0_2 Depth=1
	s_wait_alu 0xfffe
	s_and_not1_saveexec_b32 s2, s20
	s_cbranch_execz .LBB0_6
; %bb.5:                                ;   in Loop: Header=BB0_2 Depth=1
	v_cvt_f32_u32_e32 v4, s18
	s_sub_co_i32 s20, 0, s18
	s_delay_alu instid0(VALU_DEP_1) | instskip(NEXT) | instid1(TRANS32_DEP_1)
	v_rcp_iflag_f32_e32 v4, v4
	v_mul_f32_e32 v4, 0x4f7ffffe, v4
	s_delay_alu instid0(VALU_DEP_1) | instskip(SKIP_1) | instid1(VALU_DEP_1)
	v_cvt_u32_f32_e32 v4, v4
	s_wait_alu 0xfffe
	v_mul_lo_u32 v7, s20, v4
	s_delay_alu instid0(VALU_DEP_1) | instskip(NEXT) | instid1(VALU_DEP_1)
	v_mul_hi_u32 v7, v4, v7
	v_add_nc_u32_e32 v4, v4, v7
	s_delay_alu instid0(VALU_DEP_1) | instskip(NEXT) | instid1(VALU_DEP_1)
	v_mul_hi_u32 v4, v5, v4
	v_mul_lo_u32 v7, v4, s18
	v_add_nc_u32_e32 v8, 1, v4
	s_delay_alu instid0(VALU_DEP_2) | instskip(NEXT) | instid1(VALU_DEP_1)
	v_sub_nc_u32_e32 v7, v5, v7
	v_subrev_nc_u32_e32 v10, s18, v7
	v_cmp_le_u32_e32 vcc_lo, s18, v7
	s_wait_alu 0xfffd
	s_delay_alu instid0(VALU_DEP_2) | instskip(NEXT) | instid1(VALU_DEP_1)
	v_dual_cndmask_b32 v7, v7, v10 :: v_dual_cndmask_b32 v4, v4, v8
	v_cmp_le_u32_e32 vcc_lo, s18, v7
	s_delay_alu instid0(VALU_DEP_2) | instskip(SKIP_1) | instid1(VALU_DEP_1)
	v_add_nc_u32_e32 v8, 1, v4
	s_wait_alu 0xfffd
	v_dual_cndmask_b32 v7, v4, v8 :: v_dual_mov_b32 v8, v3
.LBB0_6:                                ;   in Loop: Header=BB0_2 Depth=1
	s_wait_alu 0xfffe
	s_or_b32 exec_lo, exec_lo, s2
	s_load_b64 s[20:21], s[12:13], 0x0
	s_delay_alu instid0(VALU_DEP_1)
	v_mul_lo_u32 v4, v8, s18
	v_mul_lo_u32 v12, v7, s19
	v_mad_co_u64_u32 v[10:11], null, v7, s18, 0
	s_add_nc_u64 s[14:15], s[14:15], 1
	s_add_nc_u64 s[12:13], s[12:13], 8
	s_wait_alu 0xfffe
	v_cmp_ge_u64_e64 s2, s[14:15], s[6:7]
	s_add_nc_u64 s[16:17], s[16:17], 8
	s_delay_alu instid0(VALU_DEP_2) | instskip(NEXT) | instid1(VALU_DEP_3)
	v_add3_u32 v4, v11, v12, v4
	v_sub_co_u32 v5, vcc_lo, v5, v10
	s_wait_alu 0xfffd
	s_delay_alu instid0(VALU_DEP_2) | instskip(SKIP_3) | instid1(VALU_DEP_2)
	v_sub_co_ci_u32_e32 v4, vcc_lo, v6, v4, vcc_lo
	s_and_b32 vcc_lo, exec_lo, s2
	s_wait_kmcnt 0x0
	v_mul_lo_u32 v6, s21, v5
	v_mul_lo_u32 v4, s20, v4
	v_mad_co_u64_u32 v[1:2], null, s20, v5, v[1:2]
	s_delay_alu instid0(VALU_DEP_1)
	v_add3_u32 v2, v6, v2, v4
	s_wait_alu 0xfffe
	s_cbranch_vccnz .LBB0_9
; %bb.7:                                ;   in Loop: Header=BB0_2 Depth=1
	v_dual_mov_b32 v5, v7 :: v_dual_mov_b32 v6, v8
	s_branch .LBB0_2
.LBB0_8:
	v_dual_mov_b32 v8, v6 :: v_dual_mov_b32 v7, v5
.LBB0_9:
	s_lshl_b64 s[2:3], s[6:7], 3
	v_mul_hi_u32 v4, 0x2222223, v0
	s_wait_alu 0xfffe
	s_add_nc_u64 s[2:3], s[10:11], s[2:3]
	s_load_b64 s[2:3], s[2:3], 0x0
	s_load_b64 s[0:1], s[0:1], 0x20
	s_delay_alu instid0(VALU_DEP_1) | instskip(NEXT) | instid1(VALU_DEP_1)
	v_mul_u32_u24_e32 v4, 0x78, v4
	v_sub_nc_u32_e32 v0, v0, v4
	s_delay_alu instid0(VALU_DEP_1)
	v_mov_b32_e32 v32, v0
	s_wait_kmcnt 0x0
	v_mad_co_u64_u32 v[2:3], null, s2, v7, v[1:2]
	v_and_b32_e32 v1, 1, v9
	v_mul_lo_u32 v5, s2, v8
	v_mul_lo_u32 v6, s3, v7
	s_delay_alu instid0(VALU_DEP_3) | instskip(NEXT) | instid1(VALU_DEP_2)
	v_cmp_eq_u32_e32 vcc_lo, 1, v1
	v_add3_u32 v3, v6, v3, v5
	s_wait_alu 0xfffd
	v_cndmask_b32_e64 v15, 0, 0x781, vcc_lo
	v_cmp_gt_u64_e32 vcc_lo, s[0:1], v[7:8]
	v_mov_b32_e32 v1, 0
	v_lshlrev_b64_e32 v[34:35], 3, v[2:3]
	s_delay_alu instid0(VALU_DEP_4)
	v_lshlrev_b32_e32 v46, 3, v15
	s_and_saveexec_b32 s1, vcc_lo
	s_cbranch_execz .LBB0_13
; %bb.10:
	v_lshlrev_b64_e32 v[4:5], 3, v[0:1]
	s_delay_alu instid0(VALU_DEP_3) | instskip(SKIP_3) | instid1(VALU_DEP_2)
	v_add_co_u32 v2, s0, s8, v34
	s_wait_alu 0xf1ff
	v_add_co_ci_u32_e64 v3, s0, s9, v35, s0
	s_mov_b32 s2, exec_lo
	v_add_co_u32 v4, s0, v2, v4
	s_wait_alu 0xf1ff
	s_delay_alu instid0(VALU_DEP_2)
	v_add_co_ci_u32_e64 v5, s0, v3, v5, s0
	s_clause 0xf
	global_load_b64 v[7:8], v[4:5], off
	global_load_b64 v[9:10], v[4:5], off offset:960
	global_load_b64 v[11:12], v[4:5], off offset:1920
	;; [unrolled: 1-line block ×15, first 2 shown]
	v_lshlrev_b32_e32 v4, 3, v0
	s_delay_alu instid0(VALU_DEP_1) | instskip(SKIP_1) | instid1(VALU_DEP_2)
	v_add3_u32 v6, 0, v46, v4
	v_dual_mov_b32 v5, v1 :: v_dual_mov_b32 v4, v0
	v_add_nc_u32_e32 v1, 0x400, v6
	v_add_nc_u32_e32 v42, 0xc00, v6
	;; [unrolled: 1-line block ×7, first 2 shown]
	s_wait_loadcnt 0xe
	ds_store_2addr_b64 v6, v[7:8], v[9:10] offset1:120
	s_wait_loadcnt 0xc
	ds_store_2addr_b64 v1, v[11:12], v[13:14] offset0:112 offset1:232
	s_wait_loadcnt 0xa
	ds_store_2addr_b64 v42, v[16:17], v[18:19] offset0:96 offset1:216
	;; [unrolled: 2-line block ×7, first 2 shown]
	v_cmpx_eq_u32_e32 0x77, v0
	s_cbranch_execz .LBB0_12
; %bb.11:
	global_load_b64 v[1:2], v[2:3], off offset:15360
	v_mov_b32_e32 v4, 0x77
	v_dual_mov_b32 v5, 0 :: v_dual_mov_b32 v0, 0x77
	s_wait_loadcnt 0x0
	ds_store_b64 v6, v[1:2] offset:14408
.LBB0_12:
	s_wait_alu 0xfffe
	s_or_b32 exec_lo, exec_lo, s2
	v_mov_b32_e32 v32, v0
	v_dual_mov_b32 v0, v4 :: v_dual_mov_b32 v1, v5
.LBB0_13:
	s_wait_alu 0xfffe
	s_or_b32 exec_lo, exec_lo, s1
	v_lshl_add_u32 v44, v15, 3, 0
	v_lshlrev_b32_e32 v2, 3, v32
	global_wb scope:SCOPE_SE
	s_wait_dscnt 0x0
	s_barrier_signal -1
	s_barrier_wait -1
	global_inv scope:SCOPE_SE
	v_add_nc_u32_e32 v45, v44, v2
	v_sub_nc_u32_e32 v4, v44, v2
	v_lshlrev_b64_e32 v[36:37], 3, v[0:1]
	s_mov_b32 s1, exec_lo
	ds_load_b32 v5, v45
	ds_load_b32 v6, v4 offset:15360
	s_wait_dscnt 0x0
	v_dual_add_f32 v2, v6, v5 :: v_dual_sub_f32 v3, v5, v6
	v_cmpx_ne_u32_e32 0, v32
	s_wait_alu 0xfffe
	s_xor_b32 s1, exec_lo, s1
	s_cbranch_execz .LBB0_15
; %bb.14:
	v_add_co_u32 v0, s0, s4, v36
	s_wait_alu 0xf1ff
	v_add_co_ci_u32_e64 v1, s0, s5, v37, s0
	v_dual_add_f32 v7, v6, v5 :: v_dual_sub_f32 v8, v5, v6
	global_load_b64 v[0:1], v[0:1], off offset:15280
	ds_load_b32 v2, v4 offset:15364
	ds_load_b32 v3, v45 offset:4
	s_wait_dscnt 0x0
	v_dual_add_f32 v9, v2, v3 :: v_dual_sub_f32 v2, v3, v2
	s_wait_loadcnt 0x0
	v_fma_f32 v5, -v8, v1, v7
	s_delay_alu instid0(VALU_DEP_2) | instskip(SKIP_2) | instid1(VALU_DEP_4)
	v_fma_f32 v6, v9, v1, -v2
	v_fma_f32 v10, v8, v1, v7
	v_fma_f32 v3, v9, v1, v2
	v_fmac_f32_e32 v5, v0, v9
	s_delay_alu instid0(VALU_DEP_4) | instskip(NEXT) | instid1(VALU_DEP_4)
	v_fmac_f32_e32 v6, v8, v0
	v_fma_f32 v2, -v0, v9, v10
	s_delay_alu instid0(VALU_DEP_4)
	v_fmac_f32_e32 v3, v8, v0
	ds_store_b64 v4, v[5:6] offset:15360
.LBB0_15:
	s_wait_alu 0xfffe
	s_and_not1_saveexec_b32 s0, s1
	s_cbranch_execz .LBB0_17
; %bb.16:
	ds_load_b64 v[0:1], v44 offset:7680
	s_wait_dscnt 0x0
	v_dual_add_f32 v0, v0, v0 :: v_dual_mul_f32 v1, -2.0, v1
	ds_store_b64 v44, v[0:1] offset:7680
.LBB0_17:
	s_wait_alu 0xfffe
	s_or_b32 exec_lo, exec_lo, s0
	v_mov_b32_e32 v33, 0
	s_add_nc_u64 s[0:1], s[4:5], 0x3bb0
	s_delay_alu instid0(VALU_DEP_1) | instskip(SKIP_1) | instid1(VALU_DEP_1)
	v_lshlrev_b64_e32 v[38:39], 3, v[32:33]
	s_wait_alu 0xfffe
	v_add_co_u32 v0, s0, s0, v38
	s_wait_alu 0xf1ff
	s_delay_alu instid0(VALU_DEP_2)
	v_add_co_ci_u32_e64 v1, s0, s1, v39, s0
	v_cmp_gt_u32_e64 s0, 0x48, v32
	s_clause 0x6
	global_load_b64 v[5:6], v[0:1], off offset:960
	global_load_b64 v[7:8], v[0:1], off offset:1920
	;; [unrolled: 1-line block ×7, first 2 shown]
	ds_store_b64 v45, v[2:3]
	ds_load_b64 v[2:3], v45 offset:960
	ds_load_b64 v[18:19], v4 offset:14400
	s_wait_dscnt 0x0
	v_dual_add_f32 v20, v2, v18 :: v_dual_add_f32 v21, v19, v3
	v_sub_f32_e32 v22, v2, v18
	v_sub_f32_e32 v2, v3, v19
	s_wait_loadcnt 0x6
	s_delay_alu instid0(VALU_DEP_1) | instskip(NEXT) | instid1(VALU_DEP_3)
	v_fma_f32 v3, v21, v6, v2
	v_fma_f32 v23, v22, v6, v20
	v_fma_f32 v18, -v22, v6, v20
	s_delay_alu instid0(VALU_DEP_3) | instskip(SKIP_1) | instid1(VALU_DEP_4)
	v_fmac_f32_e32 v3, v22, v5
	v_fma_f32 v19, v21, v6, -v2
	v_fma_f32 v2, -v5, v21, v23
	s_delay_alu instid0(VALU_DEP_4) | instskip(NEXT) | instid1(VALU_DEP_3)
	v_fmac_f32_e32 v18, v5, v21
	v_fmac_f32_e32 v19, v22, v5
	ds_store_b64 v45, v[2:3] offset:960
	ds_store_b64 v4, v[18:19] offset:14400
	ds_load_b64 v[2:3], v45 offset:1920
	ds_load_b64 v[5:6], v4 offset:13440
	s_wait_dscnt 0x0
	v_add_f32_e32 v19, v6, v3
	v_sub_f32_e32 v20, v2, v5
	v_add_f32_e32 v18, v2, v5
	v_sub_f32_e32 v2, v3, v6
	s_wait_loadcnt 0x5
	s_delay_alu instid0(VALU_DEP_1) | instskip(SKIP_1) | instid1(VALU_DEP_2)
	v_fma_f32 v3, v19, v8, v2
	v_fma_f32 v6, v19, v8, -v2
	v_fmac_f32_e32 v3, v20, v7
	v_fma_f32 v5, -v20, v8, v18
	s_delay_alu instid0(VALU_DEP_1) | instskip(SKIP_2) | instid1(VALU_DEP_2)
	v_fmac_f32_e32 v5, v7, v19
	v_fma_f32 v21, v20, v8, v18
	v_fmac_f32_e32 v6, v20, v7
	v_fma_f32 v2, -v7, v19, v21
	ds_store_b64 v45, v[2:3] offset:1920
	ds_store_b64 v4, v[5:6] offset:13440
	ds_load_b64 v[2:3], v45 offset:2880
	ds_load_b64 v[5:6], v4 offset:12480
	s_wait_dscnt 0x0
	v_add_f32_e32 v7, v2, v5
	v_add_f32_e32 v8, v6, v3
	v_sub_f32_e32 v18, v2, v5
	s_wait_loadcnt 0x4
	s_delay_alu instid0(VALU_DEP_1) | instskip(NEXT) | instid1(VALU_DEP_1)
	v_fma_f32 v5, -v18, v10, v7
	v_dual_fmac_f32 v5, v9, v8 :: v_dual_sub_f32 v2, v3, v6
	v_fma_f32 v19, v18, v10, v7
	s_delay_alu instid0(VALU_DEP_2) | instskip(NEXT) | instid1(VALU_DEP_1)
	v_fma_f32 v3, v8, v10, v2
	v_fmac_f32_e32 v3, v18, v9
	v_fma_f32 v6, v8, v10, -v2
	s_delay_alu instid0(VALU_DEP_4) | instskip(NEXT) | instid1(VALU_DEP_2)
	v_fma_f32 v2, -v9, v8, v19
	v_fmac_f32_e32 v6, v18, v9
	ds_store_b64 v45, v[2:3] offset:2880
	ds_store_b64 v4, v[5:6] offset:12480
	ds_load_b64 v[2:3], v45 offset:3840
	ds_load_b64 v[5:6], v4 offset:11520
	s_wait_dscnt 0x0
	v_add_f32_e32 v7, v2, v5
	v_add_f32_e32 v8, v6, v3
	v_dual_sub_f32 v9, v2, v5 :: v_dual_sub_f32 v2, v3, v6
	s_wait_loadcnt 0x3
	s_delay_alu instid0(VALU_DEP_1) | instskip(NEXT) | instid1(VALU_DEP_2)
	v_fma_f32 v10, v9, v12, v7
	v_fma_f32 v3, v8, v12, v2
	v_fma_f32 v5, -v9, v12, v7
	v_fma_f32 v6, v8, v12, -v2
	s_delay_alu instid0(VALU_DEP_4) | instskip(NEXT) | instid1(VALU_DEP_4)
	v_fma_f32 v2, -v11, v8, v10
	v_fmac_f32_e32 v3, v9, v11
	s_delay_alu instid0(VALU_DEP_3)
	v_dual_fmac_f32 v5, v11, v8 :: v_dual_fmac_f32 v6, v9, v11
	ds_store_b64 v45, v[2:3] offset:3840
	ds_store_b64 v4, v[5:6] offset:11520
	ds_load_b64 v[2:3], v45 offset:4800
	ds_load_b64 v[5:6], v4 offset:10560
	v_mul_u32_u24_e32 v11, 10, v32
	s_wait_dscnt 0x0
	v_add_f32_e32 v7, v2, v5
	v_add_f32_e32 v8, v6, v3
	v_dual_sub_f32 v9, v2, v5 :: v_dual_sub_f32 v2, v3, v6
	s_wait_loadcnt 0x2
	s_delay_alu instid0(VALU_DEP_1) | instskip(NEXT) | instid1(VALU_DEP_2)
	v_fma_f32 v10, v9, v14, v7
	v_fma_f32 v3, v8, v14, v2
	v_fma_f32 v5, -v9, v14, v7
	v_fma_f32 v6, v8, v14, -v2
	s_delay_alu instid0(VALU_DEP_4) | instskip(NEXT) | instid1(VALU_DEP_4)
	v_fma_f32 v2, -v13, v8, v10
	v_fmac_f32_e32 v3, v9, v13
	s_delay_alu instid0(VALU_DEP_4) | instskip(NEXT) | instid1(VALU_DEP_4)
	v_fmac_f32_e32 v5, v13, v8
	v_fmac_f32_e32 v6, v9, v13
	ds_store_b64 v45, v[2:3] offset:4800
	ds_store_b64 v4, v[5:6] offset:10560
	ds_load_b64 v[2:3], v45 offset:5760
	ds_load_b64 v[5:6], v4 offset:9600
	s_wait_dscnt 0x0
	v_add_f32_e32 v8, v6, v3
	v_sub_f32_e32 v9, v2, v5
	v_dual_add_f32 v7, v2, v5 :: v_dual_sub_f32 v2, v3, v6
	s_wait_loadcnt 0x1
	s_delay_alu instid0(VALU_DEP_1) | instskip(SKIP_1) | instid1(VALU_DEP_2)
	v_fma_f32 v6, v8, v17, -v2
	v_fma_f32 v3, v8, v17, v2
	v_fmac_f32_e32 v6, v9, v16
	v_fma_f32 v10, v9, v17, v7
	v_fma_f32 v5, -v9, v17, v7
	s_delay_alu instid0(VALU_DEP_4) | instskip(NEXT) | instid1(VALU_DEP_3)
	v_fmac_f32_e32 v3, v9, v16
	v_fma_f32 v2, -v16, v8, v10
	s_delay_alu instid0(VALU_DEP_3)
	v_fmac_f32_e32 v5, v16, v8
	ds_store_b64 v45, v[2:3] offset:5760
	ds_store_b64 v4, v[5:6] offset:9600
	ds_load_b64 v[6:7], v45 offset:6720
	ds_load_b64 v[8:9], v4 offset:8640
	v_lshl_add_u32 v16, v11, 3, 0
	s_wait_dscnt 0x0
	v_dual_add_f32 v5, v6, v8 :: v_dual_add_f32 v2, v9, v7
	v_sub_f32_e32 v3, v6, v8
	v_sub_f32_e32 v7, v7, v9
	v_lshl_add_u32 v6, v32, 3, 0
	s_wait_loadcnt 0x0
	s_delay_alu instid0(VALU_DEP_3) | instskip(NEXT) | instid1(VALU_DEP_3)
	v_fma_f32 v12, v3, v1, v5
	v_fma_f32 v8, v2, v1, v7
	v_fma_f32 v9, -v3, v1, v5
	v_fma_f32 v10, v2, v1, -v7
	v_add_nc_u32_e32 v33, v6, v46
	v_fma_f32 v7, -v0, v2, v12
	s_delay_alu instid0(VALU_DEP_4) | instskip(NEXT) | instid1(VALU_DEP_4)
	v_dual_fmac_f32 v8, v3, v0 :: v_dual_fmac_f32 v9, v0, v2
	v_fmac_f32_e32 v10, v3, v0
	s_delay_alu instid0(VALU_DEP_4)
	v_add_nc_u32_e32 v12, 0x2000, v33
	v_add_nc_u32_e32 v0, 0x800, v33
	v_add_nc_u32_e32 v5, 0x1400, v33
	ds_store_b64 v45, v[7:8] offset:6720
	ds_store_b64 v4, v[9:10] offset:8640
	global_wb scope:SCOPE_SE
	s_wait_dscnt 0x0
	s_barrier_signal -1
	s_barrier_wait -1
	global_inv scope:SCOPE_SE
	global_wb scope:SCOPE_SE
	s_barrier_signal -1
	s_barrier_wait -1
	global_inv scope:SCOPE_SE
	ds_load_2addr_b64 v[0:3], v0 offset0:56 offset1:128
	ds_load_2addr_b64 v[4:7], v5 offset0:56 offset1:128
	ds_load_b64 v[8:9], v45
	ds_load_2addr_b64 v[17:20], v12 offset0:56 offset1:128
	s_wait_dscnt 0x2
	v_sub_f32_e32 v56, v2, v6
	s_wait_dscnt 0x1
	v_add_f32_e32 v58, v9, v3
	v_add_nc_u32_e32 v10, 0xc00, v33
	v_dual_sub_f32 v62, v3, v7 :: v_dual_add_nc_u32 v31, 0x2c00, v33
	v_add_nc_u32_e32 v25, 0x1800, v33
	s_wait_dscnt 0x0
	v_dual_sub_f32 v60, v6, v19 :: v_dual_add_nc_u32 v29, 0x2400, v33
	v_dual_sub_f32 v55, v7, v20 :: v_dual_add_nc_u32 v30, 0x3000, v33
	ds_load_2addr_b64 v[11:14], v33 offset0:120 offset1:192
	ds_load_2addr_b64 v[21:24], v10 offset0:120 offset1:192
	;; [unrolled: 1-line block ×5, first 2 shown]
	ds_load_b64 v[29:30], v33 offset:14784
	ds_load_2addr_b64 v[51:54], v31 offset0:56 offset1:128
	v_add_nc_u32_e32 v61, v16, v46
	v_dual_add_f32 v10, v8, v2 :: v_dual_add_f32 v31, v6, v19
	v_dual_add_f32 v88, v0, v4 :: v_dual_add_f32 v93, v1, v5
	v_sub_f32_e32 v57, v6, v2
	v_add_f32_e32 v59, v7, v20
	v_dual_sub_f32 v63, v7, v3 :: v_dual_sub_f32 v90, v4, v17
	v_sub_f32_e32 v92, v17, v4
	v_sub_f32_e32 v94, v5, v18
	v_add_f32_e32 v6, v10, v6
	v_dual_add_f32 v7, v58, v7 :: v_dual_add_f32 v10, v88, v17
	global_wb scope:SCOPE_SE
	s_wait_dscnt 0x0
	v_add_f32_e32 v64, v13, v23
	v_dual_sub_f32 v70, v27, v23 :: v_dual_add_f32 v71, v14, v24
	v_dual_add_f32 v65, v27, v42 :: v_dual_add_f32 v72, v28, v43
	v_dual_sub_f32 v67, v28, v43 :: v_dual_add_f32 v76, v11, v21
	v_add_f32_e32 v69, v23, v49
	v_dual_add_f32 v75, v24, v50 :: v_dual_sub_f32 v82, v25, v21
	v_dual_add_f32 v77, v25, v40 :: v_dual_add_f32 v84, v26, v41
	v_add_f32_e32 v83, v12, v22
	v_sub_f32_e32 v85, v21, v47
	v_add_f32_e32 v87, v22, v48
	v_dual_add_f32 v113, v2, v53 :: v_dual_sub_f32 v66, v24, v50
	v_sub_f32_e32 v68, v23, v27
	v_dual_sub_f32 v23, v23, v49 :: v_dual_sub_f32 v78, v22, v48
	v_dual_sub_f32 v73, v27, v42 :: v_dual_sub_f32 v80, v21, v25
	v_sub_f32_e32 v74, v24, v28
	v_dual_sub_f32 v24, v28, v24 :: v_dual_sub_f32 v79, v26, v41
	v_sub_f32_e32 v86, v25, v40
	v_add_f32_e32 v81, v21, v47
	v_sub_f32_e32 v21, v22, v26
	v_sub_f32_e32 v22, v26, v22
	v_dual_sub_f32 v89, v5, v30 :: v_dual_sub_f32 v98, v50, v43
	v_add_f32_e32 v91, v4, v29
	v_dual_sub_f32 v4, v4, v29 :: v_dual_add_f32 v95, v5, v30
	v_sub_f32_e32 v102, v48, v41
	v_dual_sub_f32 v5, v18, v5 :: v_dual_sub_f32 v96, v49, v42
	v_dual_sub_f32 v97, v42, v49 :: v_dual_sub_f32 v104, v53, v19
	;; [unrolled: 1-line block ×4, first 2 shown]
	v_add_f32_e32 v110, v18, v52
	v_dual_sub_f32 v103, v41, v48 :: v_dual_add_f32 v112, v3, v54
	v_dual_sub_f32 v105, v19, v53 :: v_dual_add_f32 v108, v17, v51
	v_dual_sub_f32 v107, v20, v54 :: v_dual_sub_f32 v114, v29, v51
	v_dual_sub_f32 v109, v18, v52 :: v_dual_add_f32 v26, v83, v26
	v_dual_sub_f32 v111, v17, v51 :: v_dual_sub_f32 v116, v30, v52
	v_dual_sub_f32 v3, v3, v54 :: v_dual_sub_f32 v2, v2, v53
	v_sub_f32_e32 v115, v51, v29
	v_dual_add_f32 v27, v64, v27 :: v_dual_add_f32 v28, v71, v28
	v_dual_add_f32 v25, v76, v25 :: v_dual_add_f32 v18, v93, v18
	v_sub_f32_e32 v64, v52, v30
	v_fma_f32 v17, -0.5, v84, v12
	v_fmac_f32_e32 v12, -0.5, v87
	v_fma_f32 v87, -0.5, v31, v8
	v_fma_f32 v8, -0.5, v113, v8
	;; [unrolled: 1-line block ×5, first 2 shown]
	v_add_f32_e32 v58, v62, v106
	v_fma_f32 v62, -0.5, v59, v9
	v_fmac_f32_e32 v9, -0.5, v112
	v_add_f32_e32 v59, v63, v107
	v_dual_add_f32 v63, v68, v96 :: v_dual_add_f32 v68, v70, v97
	v_add_f32_e32 v70, v74, v98
	v_dual_add_f32 v24, v24, v99 :: v_dual_add_f32 v5, v5, v64
	v_dual_add_f32 v71, v80, v100 :: v_dual_add_f32 v74, v82, v101
	;; [unrolled: 1-line block ×4, first 2 shown]
	v_add_f32_e32 v82, v90, v114
	v_fma_f32 v72, -0.5, v72, v14
	v_fma_f32 v13, -0.5, v77, v11
	;; [unrolled: 1-line block ×6, first 2 shown]
	v_fmac_f32_e32 v1, -0.5, v95
	v_dual_add_f32 v21, v27, v42 :: v_dual_add_f32 v22, v28, v43
	v_dual_add_f32 v7, v7, v20 :: v_dual_add_f32 v26, v26, v41
	v_fmamk_f32 v81, v55, 0xbf737871, v8
	v_dual_fmamk_f32 v64, v3, 0x3f737871, v87 :: v_dual_add_f32 v27, v18, v52
	v_fmac_f32_e32 v8, 0x3f737871, v55
	v_dual_add_f32 v10, v10, v51 :: v_dual_fmamk_f32 v43, v23, 0xbf737871, v72
	v_fmamk_f32 v28, v66, 0x3f737871, v65
	v_dual_fmamk_f32 v42, v67, 0xbf737871, v69 :: v_dual_fmamk_f32 v93, v109, 0xbf737871, v0
	v_fmamk_f32 v51, v73, 0x3f737871, v75
	v_dual_fmac_f32 v75, 0xbf737871, v73 :: v_dual_add_f32 v84, v94, v116
	v_fmac_f32_e32 v87, 0xbf737871, v3
	v_add_f32_e32 v6, v6, v19
	v_dual_fmamk_f32 v88, v2, 0xbf737871, v62 :: v_dual_fmac_f32 v65, 0xbf737871, v66
	v_dual_fmac_f32 v62, 0x3f737871, v2 :: v_dual_fmac_f32 v69, 0x3f737871, v67
	v_dual_fmamk_f32 v90, v60, 0x3f737871, v9 :: v_dual_add_f32 v7, v7, v54
	v_fmac_f32_e32 v9, 0xbf737871, v60
	v_fmac_f32_e32 v72, 0x3f737871, v23
	v_dual_fmamk_f32 v91, v79, 0xbf737871, v14 :: v_dual_fmamk_f32 v94, v4, 0xbf737871, v77
	v_dual_fmac_f32 v14, 0x3f737871, v79 :: v_dual_fmac_f32 v77, 0x3f737871, v4
	v_dual_fmamk_f32 v92, v86, 0x3f737871, v12 :: v_dual_fmamk_f32 v95, v111, 0x3f737871, v1
	v_fmac_f32_e32 v12, 0xbf737871, v86
	v_dual_fmac_f32 v42, 0x3f167918, v66 :: v_dual_fmac_f32 v75, 0x3f167918, v23
	s_delay_alu instid0(VALU_DEP_3)
	v_dual_fmac_f32 v51, 0xbf167918, v23 :: v_dual_fmac_f32 v92, 0xbf167918, v85
	v_dual_add_f32 v23, v27, v30 :: v_dual_fmac_f32 v28, 0x3f167918, v67
	v_fmac_f32_e32 v91, 0x3f167918, v78
	v_fmamk_f32 v19, v85, 0xbf737871, v17
	v_fmac_f32_e32 v17, 0x3f737871, v85
	v_fmamk_f32 v52, v89, 0x3f737871, v11
	v_fmac_f32_e32 v0, 0x3f737871, v109
	v_fmac_f32_e32 v1, 0xbf737871, v111
	v_dual_fmac_f32 v64, 0x3f167918, v55 :: v_dual_fmac_f32 v9, 0x3f167918, v2
	v_dual_fmac_f32 v81, 0x3f167918, v3 :: v_dual_fmac_f32 v62, 0x3f167918, v60
	;; [unrolled: 1-line block ×6, first 2 shown]
	v_dual_add_f32 v2, v21, v49 :: v_dual_add_f32 v3, v22, v50
	v_fmamk_f32 v18, v78, 0x3f737871, v13
	v_dual_fmac_f32 v13, 0xbf737871, v78 :: v_dual_add_f32 v6, v6, v53
	v_dual_add_f32 v21, v26, v48 :: v_dual_fmac_f32 v28, 0x3e9e377a, v63
	v_dual_fmac_f32 v43, 0x3e9e377a, v70 :: v_dual_add_f32 v56, v56, v104
	v_add_f32_e32 v57, v57, v105
	v_dual_fmac_f32 v11, 0xbf737871, v89 :: v_dual_add_f32 v20, v25, v47
	v_dual_fmac_f32 v87, 0xbf167918, v55 :: v_dual_fmac_f32 v88, 0xbf167918, v60
	v_dual_fmac_f32 v13, 0xbf167918, v79 :: v_dual_fmac_f32 v0, 0xbf167918, v89
	v_dual_add_f32 v22, v10, v29 :: v_dual_fmac_f32 v19, 0xbf167918, v86
	v_fmac_f32_e32 v94, 0xbf167918, v111
	v_dual_fmac_f32 v52, 0x3f167918, v109 :: v_dual_fmac_f32 v1, 0x3f167918, v4
	v_dual_fmac_f32 v95, 0xbf167918, v4 :: v_dual_sub_f32 v40, v6, v2
	v_dual_fmac_f32 v62, 0x3e9e377a, v58 :: v_dual_fmac_f32 v65, 0x3e9e377a, v63
	v_dual_fmac_f32 v42, 0x3e9e377a, v68 :: v_dual_sub_f32 v41, v7, v3
	v_dual_fmac_f32 v72, 0x3e9e377a, v70 :: v_dual_fmac_f32 v51, 0x3e9e377a, v24
	v_add_f32_e32 v31, v7, v3
	v_dual_fmac_f32 v18, 0x3f167918, v79 :: v_dual_fmac_f32 v93, 0x3f167918, v89
	v_dual_sub_f32 v3, v21, v23 :: v_dual_mul_f32 v4, 0x3f4f1bbd, v28
	v_dual_fmac_f32 v12, 0x3f167918, v85 :: v_dual_fmac_f32 v77, 0x3f167918, v111
	v_dual_fmac_f32 v11, 0xbf167918, v109 :: v_dual_add_f32 v30, v6, v2
	v_dual_fmac_f32 v64, 0x3e9e377a, v56 :: v_dual_fmac_f32 v81, 0x3e9e377a, v57
	v_dual_fmac_f32 v88, 0x3e9e377a, v58 :: v_dual_fmac_f32 v9, 0x3e9e377a, v59
	;; [unrolled: 1-line block ×6, first 2 shown]
	s_delay_alu instid0(VALU_DEP_3) | instskip(SKIP_1) | instid1(VALU_DEP_4)
	v_dual_fmac_f32 v95, 0x3e9e377a, v5 :: v_dual_mul_f32 v26, 0x3e9e377a, v75
	v_fmac_f32_e32 v1, 0x3e9e377a, v5
	v_dual_mul_f32 v7, 0x3f4f1bbd, v65 :: v_dual_mul_f32 v24, 0x3f4f1bbd, v52
	v_fmac_f32_e32 v4, 0x3f167918, v43
	v_mul_f32_e32 v5, 0x3f737871, v51
	v_dual_fmac_f32 v87, 0x3e9e377a, v56 :: v_dual_fmac_f32 v8, 0x3e9e377a, v57
	v_dual_fmac_f32 v12, 0x3e9e377a, v80 :: v_dual_fmac_f32 v11, 0x3e9e377a, v82
	;; [unrolled: 1-line block ×3, first 2 shown]
	v_dual_fmac_f32 v77, 0x3e9e377a, v84 :: v_dual_sub_f32 v2, v20, v22
	v_dual_mul_f32 v6, 0x3e9e377a, v69 :: v_dual_fmac_f32 v5, 0x3e9e377a, v42
	v_mul_f32_e32 v10, 0xbf167918, v28
	v_mul_f32_e32 v28, 0x3e9e377a, v0
	v_fma_f32 v7, 0x3f167918, v72, -v7
	v_mul_f32_e32 v56, 0xbf737871, v42
	v_mul_f32_e32 v47, 0x3e9e377a, v1
	v_dual_mul_f32 v27, 0x3f4f1bbd, v72 :: v_dual_mul_f32 v48, 0x3f4f1bbd, v77
	v_fma_f32 v6, 0x3f737871, v75, -v6
	v_mul_f32_e32 v66, 0xbf737871, v93
	v_fmac_f32_e32 v56, 0x3e9e377a, v51
	v_mul_f32_e32 v63, 0x3f737871, v95
	v_fma_f32 v58, 0xbf737871, v69, -v26
	v_mul_f32_e32 v29, 0x3f4f1bbd, v11
	v_fma_f32 v26, 0x3f737871, v1, -v28
	v_fma_f32 v28, 0xbf737871, v0, -v47
	v_add_f32_e32 v47, v81, v5
	v_add_f32_e32 v50, v9, v58
	v_fmac_f32_e32 v10, 0x3f4f1bbd, v43
	v_mul_f32_e32 v25, 0xbf167918, v52
	v_dual_fmac_f32 v13, 0x3e9e377a, v71 :: v_dual_fmac_f32 v14, 0x3e9e377a, v74
	v_dual_fmac_f32 v91, 0x3e9e377a, v74 :: v_dual_fmac_f32 v92, 0x3e9e377a, v80
	v_fma_f32 v60, 0xbf167918, v65, -v27
	v_fma_f32 v27, 0x3f167918, v77, -v29
	;; [unrolled: 1-line block ×3, first 2 shown]
	v_dual_add_f32 v49, v8, v6 :: v_dual_fmac_f32 v66, 0x3e9e377a, v95
	v_dual_add_f32 v48, v90, v56 :: v_dual_fmac_f32 v63, 0x3e9e377a, v93
	v_sub_f32_e32 v54, v88, v10
	v_fmac_f32_e32 v25, 0x3f4f1bbd, v94
	v_add_f32_e32 v43, v88, v10
	v_dual_fmac_f32 v24, 0x3f167918, v94 :: v_dual_sub_f32 v53, v64, v4
	v_dual_add_f32 v42, v64, v4 :: v_dual_add_f32 v51, v87, v7
	v_dual_add_f32 v52, v62, v60 :: v_dual_sub_f32 v55, v81, v5
	v_dual_sub_f32 v57, v8, v6 :: v_dual_sub_f32 v56, v90, v56
	v_dual_sub_f32 v59, v87, v7 :: v_dual_sub_f32 v58, v9, v58
	v_dual_sub_f32 v60, v62, v60 :: v_dual_add_f32 v5, v92, v66
	v_dual_add_f32 v4, v91, v63 :: v_dual_add_f32 v7, v12, v28
	v_dual_add_f32 v6, v14, v26 :: v_dual_add_f32 v1, v17, v29
	v_dual_add_f32 v0, v13, v27 :: v_dual_sub_f32 v9, v19, v25
	v_dual_sub_f32 v8, v18, v24 :: v_dual_sub_f32 v11, v92, v66
	v_sub_f32_e32 v10, v91, v63
	s_barrier_signal -1
	s_barrier_wait -1
	global_inv scope:SCOPE_SE
	ds_store_2addr_b64 v61, v[30:31], v[42:43] offset1:1
	ds_store_2addr_b64 v61, v[47:48], v[49:50] offset0:2 offset1:3
	ds_store_2addr_b64 v61, v[51:52], v[40:41] offset0:4 offset1:5
	;; [unrolled: 1-line block ×4, first 2 shown]
	s_and_saveexec_b32 s1, s0
	s_cbranch_execz .LBB0_19
; %bb.18:
	v_lshl_add_u32 v16, v15, 3, v16
	v_dual_sub_f32 v29, v17, v29 :: v_dual_sub_f32 v30, v14, v26
	v_dual_sub_f32 v31, v12, v28 :: v_dual_sub_f32 v28, v13, v27
	v_dual_add_f32 v13, v19, v25 :: v_dual_add_f32 v12, v18, v24
	v_dual_add_f32 v15, v21, v23 :: v_dual_add_f32 v14, v20, v22
	v_add_nc_u32_e32 v17, 0x2580, v16
	v_add_nc_u32_e32 v18, 0x2590, v16
	v_add_nc_u32_e32 v19, 0x25a0, v16
	v_add_nc_u32_e32 v20, 0x25b0, v16
	v_add_nc_u32_e32 v16, 0x25c0, v16
	ds_store_2addr_b64 v17, v[14:15], v[12:13] offset1:1
	ds_store_2addr_b64 v18, v[4:5], v[6:7] offset1:1
	;; [unrolled: 1-line block ×5, first 2 shown]
.LBB0_19:
	s_wait_alu 0xfffe
	s_or_b32 exec_lo, exec_lo, s1
	v_add_nc_u32_e32 v12, 0x300, v33
	v_add_nc_u32_e32 v16, 0xd00, v33
	;; [unrolled: 1-line block ×5, first 2 shown]
	global_wb scope:SCOPE_SE
	s_wait_dscnt 0x0
	s_barrier_signal -1
	s_barrier_wait -1
	global_inv scope:SCOPE_SE
	ds_load_2addr_b64 v[12:15], v12 offset0:24 offset1:224
	ds_load_2addr_b64 v[28:31], v16 offset0:24 offset1:224
	;; [unrolled: 1-line block ×5, first 2 shown]
	ds_load_b64 v[40:41], v45
	ds_load_b64 v[42:43], v33 offset:13760
	v_cmp_gt_u32_e64 s0, 0x50, v32
	s_delay_alu instid0(VALU_DEP_1)
	s_and_saveexec_b32 s1, s0
	s_cbranch_execz .LBB0_21
; %bb.20:
	v_add_nc_u32_e32 v8, 0x180, v33
	ds_load_2addr_stride64_b64 v[4:7], v8 offset0:3 offset1:8
	ds_load_2addr_stride64_b64 v[0:3], v8 offset0:13 offset1:18
	;; [unrolled: 1-line block ×3, first 2 shown]
.LBB0_21:
	s_wait_alu 0xfffe
	s_or_b32 exec_lo, exec_lo, s1
	v_and_b32_e32 v47, 0xff, v32
	s_delay_alu instid0(VALU_DEP_1) | instskip(NEXT) | instid1(VALU_DEP_1)
	v_mul_lo_u16 v47, 0xcd, v47
	v_lshrrev_b16 v67, 11, v47
	v_add_nc_u16 v47, v32, 0x78
	s_delay_alu instid0(VALU_DEP_2) | instskip(NEXT) | instid1(VALU_DEP_2)
	v_mul_lo_u16 v48, v67, 10
	v_and_b32_e32 v49, 0xff, v47
	s_delay_alu instid0(VALU_DEP_2) | instskip(NEXT) | instid1(VALU_DEP_2)
	v_sub_nc_u16 v48, v32, v48
	v_mul_lo_u16 v49, 0xcd, v49
	s_delay_alu instid0(VALU_DEP_2) | instskip(NEXT) | instid1(VALU_DEP_2)
	v_and_b32_e32 v68, 0xff, v48
	v_lshrrev_b16 v69, 11, v49
	s_delay_alu instid0(VALU_DEP_2) | instskip(NEXT) | instid1(VALU_DEP_2)
	v_mul_u32_u24_e32 v48, 5, v68
	v_mul_lo_u16 v49, v69, 10
	s_delay_alu instid0(VALU_DEP_2) | instskip(NEXT) | instid1(VALU_DEP_2)
	v_lshlrev_b32_e32 v55, 3, v48
	v_sub_nc_u16 v56, v47, v49
	s_clause 0x1
	global_load_b128 v[47:50], v55, s[4:5]
	global_load_b128 v[51:54], v55, s[4:5] offset:16
	v_and_b32_e32 v70, 0xff, v56
	global_load_b64 v[63:64], v55, s[4:5] offset:32
	v_and_b32_e32 v67, 0xffff, v67
	v_and_b32_e32 v69, 0xffff, v69
	s_wait_loadcnt_dscnt 0x104
	v_dual_mul_f32 v71, v52, v27 :: v_dual_lshlrev_b32 v68, 3, v68
	v_mul_u32_u24_e32 v55, 5, v70
	s_wait_loadcnt_dscnt 0x2
	v_mul_f32_e32 v73, v64, v19
	v_mul_f32_e32 v72, v54, v23
	v_mad_u32_u24 v69, 0x1e0, v69, 0
	v_dual_mul_f32 v52, v52, v26 :: v_dual_lshlrev_b32 v65, 3, v55
	v_mul_f32_e32 v54, v54, v22
	v_mad_u32_u24 v67, 0x1e0, v67, 0
	v_fma_f32 v22, v53, v22, -v72
	s_clause 0x2
	global_load_b128 v[55:58], v65, s[4:5]
	global_load_b128 v[59:62], v65, s[4:5] offset:16
	global_load_b64 v[65:66], v65, s[4:5] offset:32
	v_lshlrev_b32_e32 v70, 3, v70
	v_mul_f32_e32 v64, v64, v18
	v_add3_u32 v67, v67, v68, v46
	v_fmac_f32_e32 v54, v53, v23
	v_fmac_f32_e32 v52, v51, v27
	v_fma_f32 v18, v63, v18, -v73
	global_wb scope:SCOPE_SE
	s_wait_loadcnt_dscnt 0x0
	s_barrier_signal -1
	s_barrier_wait -1
	global_inv scope:SCOPE_SE
	v_dual_mul_f32 v23, v58, v25 :: v_dual_fmac_f32 v64, v63, v19
	v_mul_f32_e32 v53, v42, v66
	v_mul_f32_e32 v19, v56, v29
	v_add3_u32 v68, v69, v70, v46
	v_mul_f32_e32 v69, v48, v15
	v_mul_f32_e32 v48, v48, v14
	;; [unrolled: 1-line block ×3, first 2 shown]
	v_dual_mul_f32 v50, v50, v30 :: v_dual_mul_f32 v27, v60, v21
	s_delay_alu instid0(VALU_DEP_4) | instskip(NEXT) | instid1(VALU_DEP_4)
	v_fma_f32 v69, v47, v14, -v69
	v_fmac_f32_e32 v48, v47, v15
	s_delay_alu instid0(VALU_DEP_4) | instskip(NEXT) | instid1(VALU_DEP_4)
	v_fma_f32 v14, v49, v30, -v70
	v_dual_fmac_f32 v50, v49, v31 :: v_dual_mul_f32 v31, v60, v20
	v_fma_f32 v15, v51, v26, -v71
	v_dual_mul_f32 v30, v56, v28 :: v_dual_mul_f32 v51, v43, v66
	s_delay_alu instid0(VALU_DEP_3)
	v_dual_mul_f32 v26, v58, v24 :: v_dual_fmac_f32 v31, v59, v21
	v_mul_f32_e32 v47, v17, v62
	v_mul_f32_e32 v49, v16, v62
	v_fma_f32 v56, v55, v28, -v19
	v_fmac_f32_e32 v30, v55, v29
	v_fmac_f32_e32 v26, v57, v25
	v_fma_f32 v20, v59, v20, -v27
	v_add_f32_e32 v27, v50, v54
	v_fma_f32 v21, v16, v61, -v47
	v_dual_fmac_f32 v49, v17, v61 :: v_dual_add_f32 v16, v40, v14
	v_dual_add_f32 v17, v14, v22 :: v_dual_add_f32 v28, v69, v15
	v_add_f32_e32 v29, v15, v18
	v_add_f32_e32 v47, v52, v64
	v_fma_f32 v19, v57, v24, -v23
	v_fma_f32 v23, v42, v65, -v51
	v_dual_fmac_f32 v53, v43, v65 :: v_dual_sub_f32 v24, v50, v54
	v_dual_add_f32 v25, v41, v50 :: v_dual_sub_f32 v42, v52, v64
	v_dual_sub_f32 v14, v14, v22 :: v_dual_add_f32 v43, v48, v52
	v_sub_f32_e32 v15, v15, v18
	v_fma_f32 v40, -0.5, v17, v40
	v_dual_add_f32 v18, v28, v18 :: v_dual_fmac_f32 v69, -0.5, v29
	v_sub_f32_e32 v28, v26, v49
	v_fmac_f32_e32 v48, -0.5, v47
	v_dual_add_f32 v16, v16, v22 :: v_dual_fmac_f32 v41, -0.5, v27
	v_dual_add_f32 v17, v25, v54 :: v_dual_add_f32 v22, v43, v64
	v_add_f32_e32 v25, v12, v19
	v_add_f32_e32 v27, v19, v21
	v_dual_add_f32 v29, v13, v26 :: v_dual_sub_f32 v50, v31, v53
	v_add_f32_e32 v26, v26, v49
	v_dual_sub_f32 v19, v19, v21 :: v_dual_fmamk_f32 v52, v24, 0x3f5db3d7, v40
	v_dual_add_f32 v47, v20, v23 :: v_dual_fmac_f32 v40, 0xbf5db3d7, v24
	v_add_f32_e32 v51, v30, v31
	v_dual_add_f32 v31, v31, v53 :: v_dual_fmamk_f32 v24, v42, 0x3f5db3d7, v69
	v_dual_fmac_f32 v69, 0xbf5db3d7, v42 :: v_dual_fmamk_f32 v42, v15, 0xbf5db3d7, v48
	v_dual_add_f32 v43, v56, v20 :: v_dual_fmamk_f32 v54, v14, 0xbf5db3d7, v41
	v_dual_sub_f32 v20, v20, v23 :: v_dual_fmac_f32 v41, 0x3f5db3d7, v14
	v_fmac_f32_e32 v48, 0x3f5db3d7, v15
	v_dual_add_f32 v14, v16, v18 :: v_dual_add_f32 v21, v25, v21
	v_dual_add_f32 v15, v17, v22 :: v_dual_fmac_f32 v56, -0.5, v47
	v_dual_sub_f32 v17, v17, v22 :: v_dual_fmac_f32 v30, -0.5, v31
	v_fma_f32 v12, -0.5, v27, v12
	v_fmac_f32_e32 v13, -0.5, v26
	v_dual_add_f32 v25, v51, v53 :: v_dual_mul_f32 v26, 0x3f5db3d7, v42
	v_dual_sub_f32 v16, v16, v18 :: v_dual_add_f32 v23, v43, v23
	v_add_f32_e32 v22, v29, v49
	v_mul_f32_e32 v27, -0.5, v69
	v_mul_f32_e32 v29, 0xbf5db3d7, v24
	v_fmamk_f32 v43, v28, 0x3f5db3d7, v12
	v_dual_fmac_f32 v12, 0xbf5db3d7, v28 :: v_dual_fmamk_f32 v47, v19, 0xbf5db3d7, v13
	v_fmac_f32_e32 v26, 0.5, v24
	v_fmamk_f32 v49, v50, 0x3f5db3d7, v56
	v_fmac_f32_e32 v56, 0xbf5db3d7, v50
	v_dual_fmamk_f32 v50, v20, 0xbf5db3d7, v30 :: v_dual_mul_f32 v31, -0.5, v48
	v_add_f32_e32 v18, v21, v23
	v_dual_fmac_f32 v13, 0x3f5db3d7, v19 :: v_dual_fmac_f32 v30, 0x3f5db3d7, v20
	v_dual_add_f32 v19, v22, v25 :: v_dual_sub_f32 v20, v21, v23
	v_dual_sub_f32 v21, v22, v25 :: v_dual_add_f32 v22, v52, v26
	v_dual_fmac_f32 v27, 0x3f5db3d7, v48 :: v_dual_sub_f32 v26, v52, v26
	v_fmac_f32_e32 v29, 0.5, v42
	v_mul_f32_e32 v42, 0x3f5db3d7, v50
	v_mul_f32_e32 v48, -0.5, v56
	s_delay_alu instid0(VALU_DEP_4) | instskip(SKIP_1) | instid1(VALU_DEP_4)
	v_dual_add_f32 v24, v40, v27 :: v_dual_mul_f32 v53, -0.5, v30
	v_dual_fmac_f32 v31, 0xbf5db3d7, v69 :: v_dual_sub_f32 v28, v40, v27
	v_fmac_f32_e32 v42, 0.5, v49
	v_mul_f32_e32 v51, 0xbf5db3d7, v49
	v_dual_add_f32 v23, v54, v29 :: v_dual_fmac_f32 v48, 0x3f5db3d7, v30
	s_delay_alu instid0(VALU_DEP_3) | instskip(NEXT) | instid1(VALU_DEP_3)
	v_dual_fmac_f32 v53, 0xbf5db3d7, v56 :: v_dual_add_f32 v30, v43, v42
	v_fmac_f32_e32 v51, 0.5, v50
	s_delay_alu instid0(VALU_DEP_3) | instskip(SKIP_2) | instid1(VALU_DEP_4)
	v_dual_add_f32 v25, v41, v31 :: v_dual_add_f32 v40, v12, v48
	v_dual_sub_f32 v27, v54, v29 :: v_dual_sub_f32 v42, v43, v42
	v_dual_sub_f32 v29, v41, v31 :: v_dual_sub_f32 v12, v12, v48
	v_add_f32_e32 v31, v47, v51
	v_add_f32_e32 v41, v13, v53
	v_sub_f32_e32 v43, v47, v51
	v_sub_f32_e32 v13, v13, v53
	ds_store_2addr_b64 v67, v[14:15], v[22:23] offset1:10
	ds_store_2addr_b64 v67, v[24:25], v[16:17] offset0:20 offset1:30
	ds_store_2addr_b64 v67, v[26:27], v[28:29] offset0:40 offset1:50
	ds_store_2addr_b64 v68, v[18:19], v[30:31] offset1:10
	ds_store_2addr_b64 v68, v[40:41], v[20:21] offset0:20 offset1:30
	ds_store_2addr_b64 v68, v[42:43], v[12:13] offset0:40 offset1:50
	s_and_saveexec_b32 s1, s0
	s_cbranch_execz .LBB0_23
; %bb.22:
	v_add_nc_u32_e32 v12, 0xf0, v32
	s_delay_alu instid0(VALU_DEP_1) | instskip(NEXT) | instid1(VALU_DEP_1)
	v_and_b32_e32 v13, 0xffff, v12
	v_mul_u32_u24_e32 v13, 0xcccd, v13
	s_delay_alu instid0(VALU_DEP_1) | instskip(NEXT) | instid1(VALU_DEP_1)
	v_lshrrev_b32_e32 v22, 19, v13
	v_mul_lo_u16 v13, v22, 10
	v_mul_lo_u16 v22, v22, 60
	s_delay_alu instid0(VALU_DEP_2) | instskip(NEXT) | instid1(VALU_DEP_1)
	v_sub_nc_u16 v12, v12, v13
	v_and_b32_e32 v23, 0xffff, v12
	s_delay_alu instid0(VALU_DEP_1) | instskip(NEXT) | instid1(VALU_DEP_1)
	v_mul_u32_u24_e32 v12, 5, v23
	v_lshlrev_b32_e32 v20, 3, v12
	s_clause 0x2
	global_load_b128 v[12:15], v20, s[4:5]
	global_load_b128 v[16:19], v20, s[4:5] offset:16
	global_load_b64 v[20:21], v20, s[4:5] offset:32
	s_wait_loadcnt 0x2
	v_dual_mul_f32 v25, v7, v13 :: v_dual_and_b32 v22, 0xffff, v22
	s_wait_loadcnt 0x1
	v_mul_f32_e32 v24, v9, v19
	s_delay_alu instid0(VALU_DEP_2) | instskip(SKIP_2) | instid1(VALU_DEP_4)
	v_dual_mul_f32 v19, v8, v19 :: v_dual_lshlrev_b32 v22, 3, v22
	v_mul_f32_e32 v26, v3, v17
	v_lshl_add_u32 v23, v23, 3, 0
	v_fma_f32 v8, v8, v18, -v24
	v_mul_f32_e32 v13, v6, v13
	s_delay_alu instid0(VALU_DEP_3) | instskip(SKIP_2) | instid1(VALU_DEP_2)
	v_add3_u32 v22, v23, v22, v46
	v_mul_f32_e32 v23, v1, v15
	v_mul_f32_e32 v15, v0, v15
	v_fma_f32 v0, v0, v14, -v23
	v_mul_f32_e32 v17, v2, v17
	v_fma_f32 v2, v2, v16, -v26
	s_delay_alu instid0(VALU_DEP_2) | instskip(SKIP_3) | instid1(VALU_DEP_3)
	v_fmac_f32_e32 v17, v3, v16
	v_fmac_f32_e32 v13, v7, v12
	v_sub_f32_e32 v3, v0, v8
	v_fmac_f32_e32 v19, v9, v18
	v_add_f32_e32 v16, v13, v17
	v_fmac_f32_e32 v15, v1, v14
	s_wait_loadcnt 0x0
	v_mul_f32_e32 v27, v11, v21
	v_fma_f32 v1, v6, v12, -v25
	v_mul_f32_e32 v21, v10, v21
	v_add_f32_e32 v7, v15, v19
	s_delay_alu instid0(VALU_DEP_1) | instskip(NEXT) | instid1(VALU_DEP_3)
	v_fma_f32 v18, -0.5, v7, v5
	v_fmac_f32_e32 v21, v11, v20
	s_delay_alu instid0(VALU_DEP_1) | instskip(NEXT) | instid1(VALU_DEP_1)
	v_add_f32_e32 v12, v17, v21
	v_fma_f32 v7, -0.5, v12, v13
	v_add_f32_e32 v12, v16, v21
	v_add_f32_e32 v14, v5, v15
	v_fma_f32 v6, v10, v20, -v27
	s_delay_alu instid0(VALU_DEP_1) | instskip(SKIP_2) | instid1(VALU_DEP_2)
	v_sub_f32_e32 v11, v2, v6
	v_add_f32_e32 v9, v2, v6
	v_add_f32_e32 v2, v1, v2
	v_fma_f32 v5, -0.5, v9, v1
	s_delay_alu instid0(VALU_DEP_2) | instskip(SKIP_4) | instid1(VALU_DEP_2)
	v_add_f32_e32 v2, v2, v6
	v_fmamk_f32 v6, v3, 0x3f5db3d7, v18
	v_fmac_f32_e32 v18, 0xbf5db3d7, v3
	v_dual_sub_f32 v10, v17, v21 :: v_dual_add_f32 v17, v0, v8
	v_dual_add_f32 v0, v4, v0 :: v_dual_add_f32 v9, v14, v19
	v_fma_f32 v13, -0.5, v17, v4
	s_delay_alu instid0(VALU_DEP_2) | instskip(NEXT) | instid1(VALU_DEP_4)
	v_dual_add_f32 v4, v0, v8 :: v_dual_sub_f32 v15, v15, v19
	v_fmamk_f32 v8, v10, 0xbf5db3d7, v5
	v_fmac_f32_e32 v5, 0x3f5db3d7, v10
	s_delay_alu instid0(VALU_DEP_3) | instskip(NEXT) | instid1(VALU_DEP_4)
	v_sub_f32_e32 v0, v4, v2
	v_fmamk_f32 v16, v15, 0xbf5db3d7, v13
	v_fmamk_f32 v14, v11, 0x3f5db3d7, v7
	v_add_f32_e32 v2, v4, v2
	s_delay_alu instid0(VALU_DEP_2) | instskip(SKIP_2) | instid1(VALU_DEP_3)
	v_dual_mul_f32 v10, -0.5, v14 :: v_dual_fmac_f32 v7, 0xbf5db3d7, v11
	v_sub_f32_e32 v1, v9, v12
	v_add_f32_e32 v3, v9, v12
	v_fmac_f32_e32 v10, 0xbf5db3d7, v8
	s_delay_alu instid0(VALU_DEP_4) | instskip(SKIP_2) | instid1(VALU_DEP_3)
	v_mul_f32_e32 v12, 0x3f5db3d7, v7
	v_fmac_f32_e32 v13, 0x3f5db3d7, v15
	v_mul_f32_e32 v15, -0.5, v8
	v_dual_add_f32 v9, v6, v10 :: v_dual_fmac_f32 v12, 0.5, v5
	s_delay_alu instid0(VALU_DEP_2) | instskip(SKIP_1) | instid1(VALU_DEP_3)
	v_fmac_f32_e32 v15, 0x3f5db3d7, v14
	v_mul_f32_e32 v11, 0xbf5db3d7, v5
	v_dual_sub_f32 v5, v6, v10 :: v_dual_sub_f32 v6, v13, v12
	v_add_f32_e32 v10, v13, v12
	s_delay_alu instid0(VALU_DEP_4) | instskip(NEXT) | instid1(VALU_DEP_4)
	v_sub_f32_e32 v4, v16, v15
	v_fmac_f32_e32 v11, 0.5, v7
	v_add_f32_e32 v8, v16, v15
	s_delay_alu instid0(VALU_DEP_2)
	v_sub_f32_e32 v7, v18, v11
	v_add_f32_e32 v11, v18, v11
	ds_store_2addr_b64 v22, v[2:3], v[10:11] offset1:10
	ds_store_2addr_b64 v22, v[8:9], v[0:1] offset0:20 offset1:30
	ds_store_2addr_b64 v22, v[6:7], v[4:5] offset0:40 offset1:50
.LBB0_23:
	s_wait_alu 0xfffe
	s_or_b32 exec_lo, exec_lo, s1
	v_subrev_nc_u32_e32 v0, 60, v32
	v_cmp_gt_u32_e64 s0, 60, v32
	v_mov_b32_e32 v1, 0
	global_wb scope:SCOPE_SE
	s_wait_dscnt 0x0
	s_barrier_signal -1
	s_barrier_wait -1
	s_wait_alu 0xf1ff
	v_cndmask_b32_e64 v31, v0, v32, s0
	global_inv scope:SCOPE_SE
	v_mul_i32_i24_e32 v0, 15, v31
	s_delay_alu instid0(VALU_DEP_1) | instskip(NEXT) | instid1(VALU_DEP_1)
	v_lshlrev_b64_e32 v[2:3], 3, v[0:1]
	v_add_co_u32 v2, s0, s4, v2
	s_wait_alu 0xf1ff
	s_delay_alu instid0(VALU_DEP_2)
	v_add_co_ci_u32_e64 v3, s0, s5, v3, s0
	v_cmp_lt_u32_e64 s0, 59, v32
	s_clause 0x7
	global_load_b128 v[7:10], v[2:3], off offset:400
	global_load_b128 v[11:14], v[2:3], off offset:416
	;; [unrolled: 1-line block ×7, first 2 shown]
	global_load_b64 v[71:72], v[2:3], off offset:512
	v_add_nc_u32_e32 v2, 0x1000, v33
	ds_load_2addr_b64 v[47:50], v33 offset0:120 offset1:240
	v_add_nc_u32_e32 v3, 0x800, v33
	s_wait_alu 0xf1ff
	v_cndmask_b32_e64 v51, 0, 0x3c0, s0
	v_add_co_u32 v77, s0, s4, v36
	s_wait_alu 0xf1ff
	v_add_co_ci_u32_e64 v78, s0, s5, v37, s0
	v_add_co_u32 v79, s0, s4, v38
	ds_load_b64 v[73:74], v45
	ds_load_b64 v[75:76], v33 offset:14400
	v_or_b32_e32 v31, v51, v31
	s_wait_alu 0xf1ff
	v_add_co_ci_u32_e64 v80, s0, s5, v39, s0
	v_add_nc_u32_e32 v4, 0x1800, v33
	v_add_nc_u32_e32 v5, 0x2800, v33
	s_wait_loadcnt_dscnt 0x702
	v_dual_mul_f32 v86, v8, v48 :: v_dual_lshlrev_b32 v31, 3, v31
	ds_load_2addr_b64 v[36:39], v3 offset0:104 offset1:224
	ds_load_2addr_b64 v[51:54], v2 offset0:88 offset1:208
	v_add_nc_u32_e32 v0, 0x2000, v33
	v_add_nc_u32_e32 v6, 0x3000, v33
	v_dual_mul_f32 v8, v8, v47 :: v_dual_mul_f32 v87, v10, v50
	v_mul_f32_e32 v10, v10, v49
	v_add3_u32 v31, 0, v31, v46
	v_fma_f32 v47, v7, v47, -v86
	s_delay_alu instid0(VALU_DEP_4) | instskip(SKIP_1) | instid1(VALU_DEP_4)
	v_fmac_f32_e32 v8, v7, v48
	v_fma_f32 v7, v9, v49, -v87
	v_dual_fmac_f32 v10, v9, v50 :: v_dual_add_nc_u32 v81, 0x800, v31
	v_add_nc_u32_e32 v83, 0x1000, v31
	v_add_nc_u32_e32 v85, 0x1800, v31
	s_wait_loadcnt_dscnt 0x601
	v_mul_f32_e32 v89, v39, v14
	v_mul_f32_e32 v14, v38, v14
	s_wait_loadcnt_dscnt 0x500
	v_mul_f32_e32 v91, v54, v18
	ds_load_2addr_b64 v[55:58], v4 offset0:72 offset1:192
	ds_load_2addr_b64 v[59:62], v0 offset0:56 offset1:176
	;; [unrolled: 1-line block ×4, first 2 shown]
	v_mul_f32_e32 v88, v12, v37
	v_mul_f32_e32 v12, v12, v36
	;; [unrolled: 1-line block ×4, first 2 shown]
	v_fmac_f32_e32 v14, v39, v13
	v_fma_f32 v9, v11, v36, -v88
	v_fmac_f32_e32 v12, v11, v37
	v_fma_f32 v11, v38, v13, -v89
	v_add_nc_u32_e32 v46, 0x400, v31
	v_add_nc_u32_e32 v82, 0xc00, v31
	v_add_nc_u32_e32 v84, 0x1400, v31
	global_wb scope:SCOPE_SE
	s_wait_loadcnt_dscnt 0x0
	s_barrier_signal -1
	s_barrier_wait -1
	global_inv scope:SCOPE_SE
	v_dual_mul_f32 v92, v56, v20 :: v_dual_mul_f32 v93, v58, v22
	v_dual_mul_f32 v22, v57, v22 :: v_dual_mul_f32 v99, v70, v43
	v_mul_f32_e32 v98, v68, v41
	v_mul_f32_e32 v41, v67, v41
	v_fma_f32 v13, v51, v15, -v90
	v_fmac_f32_e32 v16, v52, v15
	v_fma_f32 v15, v53, v17, -v91
	v_fma_f32 v36, v69, v42, -v99
	v_dual_mul_f32 v18, v53, v18 :: v_dual_fmac_f32 v41, v68, v40
	v_dual_mul_f32 v43, v69, v43 :: v_dual_mul_f32 v20, v55, v20
	s_delay_alu instid0(VALU_DEP_3) | instskip(SKIP_1) | instid1(VALU_DEP_3)
	v_dual_sub_f32 v36, v15, v36 :: v_dual_mul_f32 v95, v62, v26
	v_fmac_f32_e32 v22, v58, v21
	v_dual_fmac_f32 v43, v70, v42 :: v_dual_fmac_f32 v20, v56, v19
	s_delay_alu instid0(VALU_DEP_3)
	v_fma_f32 v15, v15, 2.0, -v36
	v_fmac_f32_e32 v18, v54, v17
	v_fma_f32 v17, v55, v19, -v92
	v_fma_f32 v19, v57, v21, -v93
	v_mul_f32_e32 v94, v60, v24
	v_dual_mul_f32 v24, v59, v24 :: v_dual_mul_f32 v97, v66, v30
	v_sub_f32_e32 v39, v16, v41
	s_delay_alu instid0(VALU_DEP_4) | instskip(NEXT) | instid1(VALU_DEP_4)
	v_sub_f32_e32 v19, v73, v19
	v_fma_f32 v21, v59, v23, -v94
	s_delay_alu instid0(VALU_DEP_4) | instskip(SKIP_2) | instid1(VALU_DEP_4)
	v_fmac_f32_e32 v24, v60, v23
	v_fma_f32 v23, v61, v25, -v95
	v_mul_f32_e32 v26, v61, v26
	v_dual_mul_f32 v96, v64, v28 :: v_dual_sub_f32 v21, v47, v21
	v_mul_f32_e32 v28, v63, v28
	s_delay_alu instid0(VALU_DEP_4) | instskip(SKIP_2) | instid1(VALU_DEP_4)
	v_dual_sub_f32 v23, v7, v23 :: v_dual_sub_f32 v22, v74, v22
	v_fma_f32 v41, v73, 2.0, -v19
	v_fma_f32 v16, v16, 2.0, -v39
	v_fmac_f32_e32 v28, v64, v27
	s_delay_alu instid0(VALU_DEP_4) | instskip(SKIP_2) | instid1(VALU_DEP_3)
	v_fma_f32 v7, v7, 2.0, -v23
	v_sub_f32_e32 v39, v21, v39
	v_add_nc_u32_e32 v61, 0x1400, v33
	v_sub_f32_e32 v15, v7, v15
	v_sub_f32_e32 v38, v18, v43
	v_fma_f32 v43, v47, 2.0, -v21
	v_fma_f32 v21, v21, 2.0, -v39
	s_delay_alu instid0(VALU_DEP_4)
	v_fma_f32 v7, v7, 2.0, -v15
	v_fmac_f32_e32 v26, v62, v25
	v_fma_f32 v25, v63, v27, -v96
	v_mul_f32_e32 v100, v76, v72
	v_fma_f32 v27, v65, v29, -v97
	v_fma_f32 v18, v18, 2.0, -v38
	s_delay_alu instid0(VALU_DEP_4) | instskip(NEXT) | instid1(VALU_DEP_4)
	v_dual_sub_f32 v38, v23, v38 :: v_dual_sub_f32 v25, v9, v25
	v_fma_f32 v37, v75, v71, -v100
	v_mul_f32_e32 v72, v75, v72
	v_dual_sub_f32 v27, v11, v27 :: v_dual_mul_f32 v30, v65, v30
	s_delay_alu instid0(VALU_DEP_4) | instskip(NEXT) | instid1(VALU_DEP_3)
	v_fma_f32 v9, v9, 2.0, -v25
	v_dual_sub_f32 v37, v17, v37 :: v_dual_fmac_f32 v72, v76, v71
	s_delay_alu instid0(VALU_DEP_3) | instskip(SKIP_2) | instid1(VALU_DEP_4)
	v_fma_f32 v11, v11, 2.0, -v27
	v_add_f32_e32 v27, v22, v27
	v_fma_f32 v23, v23, 2.0, -v38
	v_fma_f32 v17, v17, 2.0, -v37
	v_fmac_f32_e32 v30, v66, v29
	v_fma_f32 v29, v67, v40, -v98
	v_dual_sub_f32 v11, v41, v11 :: v_dual_sub_f32 v28, v12, v28
	s_delay_alu instid0(VALU_DEP_4) | instskip(NEXT) | instid1(VALU_DEP_3)
	v_dual_sub_f32 v17, v9, v17 :: v_dual_sub_f32 v40, v20, v72
	v_sub_f32_e32 v29, v13, v29
	s_delay_alu instid0(VALU_DEP_3) | instskip(NEXT) | instid1(VALU_DEP_4)
	v_fma_f32 v41, v41, 2.0, -v11
	v_add_f32_e32 v37, v28, v37
	v_fma_f32 v12, v12, 2.0, -v28
	v_fma_f32 v20, v20, 2.0, -v40
	v_sub_f32_e32 v40, v25, v40
	v_fma_f32 v13, v13, 2.0, -v29
	v_fma_f32 v28, v28, 2.0, -v37
	s_delay_alu instid0(VALU_DEP_4) | instskip(NEXT) | instid1(VALU_DEP_4)
	v_sub_f32_e32 v20, v12, v20
	v_fmamk_f32 v49, v40, 0x3f3504f3, v39
	s_delay_alu instid0(VALU_DEP_4) | instskip(SKIP_1) | instid1(VALU_DEP_3)
	v_sub_f32_e32 v13, v43, v13
	v_fma_f32 v25, v25, 2.0, -v40
	v_dual_fmac_f32 v49, 0xbf3504f3, v37 :: v_dual_sub_f32 v24, v8, v24
	s_delay_alu instid0(VALU_DEP_3) | instskip(NEXT) | instid1(VALU_DEP_2)
	v_fma_f32 v43, v43, 2.0, -v13
	v_add_f32_e32 v29, v24, v29
	v_fma_f32 v8, v8, 2.0, -v24
	s_delay_alu instid0(VALU_DEP_2) | instskip(SKIP_1) | instid1(VALU_DEP_3)
	v_fmamk_f32 v50, v37, 0x3f3504f3, v29
	v_dual_sub_f32 v37, v41, v7 :: v_dual_sub_f32 v26, v10, v26
	v_sub_f32_e32 v16, v8, v16
	s_delay_alu instid0(VALU_DEP_3) | instskip(NEXT) | instid1(VALU_DEP_3)
	v_fmac_f32_e32 v50, 0x3f3504f3, v40
	v_fma_f32 v10, v10, 2.0, -v26
	v_add_f32_e32 v36, v26, v36
	s_delay_alu instid0(VALU_DEP_4)
	v_fma_f32 v51, v8, 2.0, -v16
	v_fma_f32 v8, v9, 2.0, -v17
	v_fma_f32 v9, v12, 2.0, -v20
	v_sub_f32_e32 v18, v10, v18
	v_sub_f32_e32 v20, v13, v20
	v_fma_f32 v26, v26, 2.0, -v36
	v_dual_add_f32 v56, v16, v17 :: v_dual_sub_f32 v17, v43, v8
	s_delay_alu instid0(VALU_DEP_4) | instskip(SKIP_1) | instid1(VALU_DEP_2)
	v_sub_f32_e32 v54, v11, v18
	v_fma_f32 v10, v10, 2.0, -v18
	v_fmamk_f32 v7, v20, 0x3f3504f3, v54
	v_fma_f32 v42, v74, 2.0, -v22
	v_fma_f32 v22, v22, 2.0, -v27
	s_delay_alu instid0(VALU_DEP_3) | instskip(NEXT) | instid1(VALU_DEP_2)
	v_fmac_f32_e32 v7, 0xbf3504f3, v56
	v_fmamk_f32 v53, v26, 0xbf3504f3, v22
	v_fma_f32 v24, v24, 2.0, -v29
	s_delay_alu instid0(VALU_DEP_2) | instskip(NEXT) | instid1(VALU_DEP_1)
	v_dual_fmac_f32 v53, 0x3f3504f3, v23 :: v_dual_sub_f32 v30, v14, v30
	v_fma_f32 v14, v14, 2.0, -v30
	s_delay_alu instid0(VALU_DEP_1) | instskip(NEXT) | instid1(VALU_DEP_1)
	v_sub_f32_e32 v14, v42, v14
	v_add_f32_e32 v55, v14, v15
	v_sub_f32_e32 v15, v51, v9
	v_sub_f32_e32 v30, v19, v30
	v_fma_f32 v42, v42, 2.0, -v14
	s_delay_alu instid0(VALU_DEP_4) | instskip(NEXT) | instid1(VALU_DEP_3)
	v_fmamk_f32 v8, v56, 0x3f3504f3, v55
	v_fma_f32 v19, v19, 2.0, -v30
	s_delay_alu instid0(VALU_DEP_3) | instskip(NEXT) | instid1(VALU_DEP_3)
	v_sub_f32_e32 v40, v42, v10
	v_fmac_f32_e32 v8, 0x3f3504f3, v20
	s_delay_alu instid0(VALU_DEP_3) | instskip(SKIP_1) | instid1(VALU_DEP_2)
	v_fmamk_f32 v52, v23, 0xbf3504f3, v19
	v_fma_f32 v23, v13, 2.0, -v20
	v_fmac_f32_e32 v52, 0xbf3504f3, v26
	v_fma_f32 v26, v39, 2.0, -v49
	v_fma_f32 v39, v42, 2.0, -v40
	;; [unrolled: 1-line block ×4, first 2 shown]
	v_sub_f32_e32 v15, v37, v15
	s_delay_alu instid0(VALU_DEP_2) | instskip(NEXT) | instid1(VALU_DEP_1)
	v_dual_fmamk_f32 v47, v38, 0x3f3504f3, v30 :: v_dual_sub_f32 v20, v39, v22
	v_fmac_f32_e32 v47, 0xbf3504f3, v36
	s_delay_alu instid0(VALU_DEP_1) | instskip(SKIP_1) | instid1(VALU_DEP_2)
	v_fmamk_f32 v9, v49, 0x3f6c835e, v47
	v_fma_f32 v30, v30, 2.0, -v47
	v_fmac_f32_e32 v9, 0xbec3ef15, v50
	v_fmamk_f32 v48, v36, 0x3f3504f3, v27
	v_fmamk_f32 v36, v25, 0xbf3504f3, v21
	s_delay_alu instid0(VALU_DEP_4) | instskip(NEXT) | instid1(VALU_DEP_3)
	v_fmamk_f32 v13, v26, 0xbec3ef15, v30
	v_fmac_f32_e32 v48, 0x3f3504f3, v38
	v_fmamk_f32 v38, v28, 0xbf3504f3, v24
	s_delay_alu instid0(VALU_DEP_4) | instskip(NEXT) | instid1(VALU_DEP_3)
	v_fmac_f32_e32 v36, 0xbf3504f3, v28
	v_fma_f32 v59, v27, 2.0, -v48
	s_delay_alu instid0(VALU_DEP_3)
	v_fmac_f32_e32 v38, 0x3f3504f3, v25
	v_fma_f32 v27, v29, 2.0, -v50
	v_fma_f32 v29, v41, 2.0, -v37
	;; [unrolled: 1-line block ×6, first 2 shown]
	v_fmac_f32_e32 v13, 0xbf6c835e, v27
	v_fma_f32 v25, v16, 2.0, -v56
	v_sub_f32_e32 v19, v29, v19
	v_fmamk_f32 v21, v43, 0xbf6c835e, v41
	v_fma_f32 v58, v14, 2.0, -v55
	v_fmamk_f32 v10, v50, 0x3f6c835e, v48
	v_fmamk_f32 v14, v27, 0xbec3ef15, v59
	s_delay_alu instid0(VALU_DEP_4) | instskip(SKIP_4) | instid1(VALU_DEP_4)
	v_dual_add_f32 v16, v40, v17 :: v_dual_fmac_f32 v21, 0xbec3ef15, v51
	v_fma_f32 v57, v11, 2.0, -v54
	v_fmamk_f32 v12, v25, 0xbf3504f3, v58
	v_dual_fmamk_f32 v17, v36, 0x3ec3ef15, v52 :: v_dual_fmamk_f32 v18, v38, 0x3ec3ef15, v53
	v_fmac_f32_e32 v10, 0x3ec3ef15, v49
	v_fmamk_f32 v11, v23, 0xbf3504f3, v57
	v_fmamk_f32 v22, v51, 0xbf6c835e, v42
	v_fmac_f32_e32 v12, 0x3f3504f3, v23
	v_fmac_f32_e32 v14, 0x3f6c835e, v26
	;; [unrolled: 1-line block ×5, first 2 shown]
	v_fma_f32 v25, v54, 2.0, -v7
	v_fma_f32 v26, v55, 2.0, -v8
	;; [unrolled: 1-line block ×4, first 2 shown]
	v_fmac_f32_e32 v22, 0x3ec3ef15, v43
	ds_store_2addr_b64 v85, v[7:8], v[9:10] offset0:72 offset1:132
	v_fma_f32 v7, v29, 2.0, -v19
	v_fma_f32 v9, v57, 2.0, -v11
	;; [unrolled: 1-line block ×10, first 2 shown]
	ds_store_2addr_b64 v81, v[25:26], v[27:28] offset0:104 offset1:164
	ds_store_2addr_b64 v83, v[11:12], v[13:14] offset0:88 offset1:148
	v_fma_f32 v11, v41, 2.0, -v21
	v_fma_f32 v12, v42, 2.0, -v22
	ds_store_2addr_b64 v84, v[15:16], v[17:18] offset0:80 offset1:140
	ds_store_2addr_b64 v31, v[9:10], v[29:30] offset0:120 offset1:180
	;; [unrolled: 1-line block ×4, first 2 shown]
	ds_store_2addr_b64 v31, v[7:8], v[11:12] offset1:60
	global_wb scope:SCOPE_SE
	s_wait_dscnt 0x0
	s_barrier_signal -1
	s_barrier_wait -1
	global_inv scope:SCOPE_SE
	s_clause 0x7
	global_load_b64 v[40:41], v[77:78], off offset:7600
	global_load_b64 v[42:43], v[79:80], off offset:8560
	;; [unrolled: 1-line block ×8, first 2 shown]
	ds_load_2addr_b64 v[7:10], v4 offset0:72 offset1:192
	ds_load_2addr_b64 v[11:14], v0 offset0:56 offset1:176
	;; [unrolled: 1-line block ×6, first 2 shown]
	ds_load_b64 v[3:4], v45
	ds_load_b64 v[58:59], v33 offset:14400
	ds_load_2addr_b64 v[36:39], v2 offset0:88 offset1:208
	v_add_nc_u32_e32 v31, 0x400, v33
	global_wb scope:SCOPE_SE
	s_wait_loadcnt_dscnt 0x0
	s_barrier_signal -1
	s_barrier_wait -1
	global_inv scope:SCOPE_SE
	v_mul_f32_e32 v45, v43, v12
	v_mul_f32_e32 v43, v43, v11
	;; [unrolled: 1-line block ×9, first 2 shown]
	v_fma_f32 v19, v19, v52, -v65
	v_mul_f32_e32 v2, v41, v10
	v_mul_f32_e32 v41, v41, v9
	;; [unrolled: 1-line block ×4, first 2 shown]
	v_sub_f32_e32 v19, v36, v19
	v_mul_f32_e32 v55, v21, v55
	v_fmac_f32_e32 v41, v40, v10
	v_fmac_f32_e32 v57, v59, v56
	v_mul_f32_e32 v62, v47, v14
	v_mul_f32_e32 v47, v47, v13
	v_fma_f32 v2, v40, v9, -v2
	v_fma_f32 v11, v42, v11, -v45
	v_fmac_f32_e32 v43, v42, v12
	v_fma_f32 v15, v48, v15, -v63
	v_fmac_f32_e32 v47, v46, v14
	v_fmac_f32_e32 v49, v48, v16
	v_fma_f32 v17, v17, v50, -v64
	v_fmac_f32_e32 v51, v18, v50
	;; [unrolled: 3-line block ×3, first 2 shown]
	v_fma_f32 v40, v58, v56, -v67
	v_sub_f32_e32 v10, v4, v41
	v_sub_f32_e32 v41, v8, v57
	v_fma_f32 v13, v46, v13, -v62
	v_dual_sub_f32 v15, v27, v15 :: v_dual_add_nc_u32 v60, 0xc00, v33
	v_sub_f32_e32 v9, v3, v2
	v_sub_f32_e32 v11, v23, v11
	s_delay_alu instid0(VALU_DEP_4)
	v_dual_sub_f32 v12, v24, v43 :: v_dual_sub_f32 v13, v25, v13
	v_sub_f32_e32 v14, v26, v47
	v_sub_f32_e32 v16, v28, v49
	v_dual_sub_f32 v17, v29, v17 :: v_dual_sub_f32 v18, v30, v51
	v_sub_f32_e32 v20, v37, v53
	v_dual_sub_f32 v21, v38, v21 :: v_dual_sub_f32 v22, v39, v55
	v_sub_f32_e32 v40, v7, v40
	v_fma_f32 v2, v3, 2.0, -v9
	v_fma_f32 v3, v4, 2.0, -v10
	;; [unrolled: 1-line block ×16, first 2 shown]
	ds_store_2addr_b64 v0, v[11:12], v[13:14] offset0:56 offset1:176
	ds_store_2addr_b64 v5, v[15:16], v[17:18] offset0:40 offset1:160
	;; [unrolled: 1-line block ×3, first 2 shown]
	ds_store_b64 v33, v[9:10] offset:7680
	ds_store_b64 v33, v[40:41] offset:14400
	ds_store_2addr_b64 v33, v[2:3], v[23:24] offset1:120
	ds_store_2addr_b64 v31, v[25:26], v[27:28] offset0:112 offset1:232
	ds_store_2addr_b64 v60, v[29:30], v[36:37] offset0:96 offset1:216
	;; [unrolled: 1-line block ×3, first 2 shown]
	global_wb scope:SCOPE_SE
	s_wait_dscnt 0x0
	s_barrier_signal -1
	s_barrier_wait -1
	global_inv scope:SCOPE_SE
	s_and_saveexec_b32 s0, vcc_lo
	s_cbranch_execz .LBB0_25
; %bb.24:
	v_dual_mov_b32 v33, v1 :: v_dual_add_nc_u32 v0, 0x78, v32
	v_lshl_add_u32 v28, v32, 3, v44
	s_delay_alu instid0(VALU_DEP_2)
	v_lshlrev_b64_e32 v[6:7], 3, v[32:33]
	v_add_co_u32 v33, vcc_lo, s8, v34
	s_wait_alu 0xfffd
	v_add_co_ci_u32_e32 v34, vcc_lo, s9, v35, vcc_lo
	v_add_nc_u32_e32 v8, 0x400, v28
	ds_load_2addr_b64 v[2:5], v28 offset1:120
	v_lshlrev_b64_e32 v[10:11], 3, v[0:1]
	v_add_nc_u32_e32 v0, 0xf0, v32
	v_add_co_u32 v12, vcc_lo, v33, v6
	s_wait_alu 0xfffd
	v_add_co_ci_u32_e32 v13, vcc_lo, v34, v7, vcc_lo
	ds_load_2addr_b64 v[6:9], v8 offset0:112 offset1:232
	v_lshlrev_b64_e32 v[14:15], 3, v[0:1]
	v_add_nc_u32_e32 v0, 0x168, v32
	v_add_co_u32 v10, vcc_lo, v33, v10
	s_wait_alu 0xfffd
	v_add_co_ci_u32_e32 v11, vcc_lo, v34, v11, vcc_lo
	s_delay_alu instid0(VALU_DEP_3) | instskip(SKIP_4) | instid1(VALU_DEP_4)
	v_lshlrev_b64_e32 v[16:17], 3, v[0:1]
	v_add_co_u32 v14, vcc_lo, v33, v14
	v_add_nc_u32_e32 v0, 0x1e0, v32
	s_wait_alu 0xfffd
	v_add_co_ci_u32_e32 v15, vcc_lo, v34, v15, vcc_lo
	v_add_co_u32 v16, vcc_lo, v33, v16
	s_wait_alu 0xfffd
	v_add_co_ci_u32_e32 v17, vcc_lo, v34, v17, vcc_lo
	v_add_nc_u32_e32 v20, 0xc00, v28
	v_lshlrev_b64_e32 v[18:19], 3, v[0:1]
	v_add_nc_u32_e32 v0, 0x258, v32
	s_wait_dscnt 0x1
	s_clause 0x1
	global_store_b64 v[12:13], v[2:3], off
	global_store_b64 v[10:11], v[4:5], off
	s_wait_dscnt 0x0
	s_clause 0x1
	global_store_b64 v[14:15], v[6:7], off
	global_store_b64 v[16:17], v[8:9], off
	v_add_nc_u32_e32 v6, 0x1400, v28
	ds_load_2addr_b64 v[2:5], v20 offset0:96 offset1:216
	v_add_nc_u32_e32 v20, 0x1c00, v28
	v_lshlrev_b64_e32 v[10:11], 3, v[0:1]
	v_add_nc_u32_e32 v0, 0x2d0, v32
	ds_load_2addr_b64 v[6:9], v6 offset0:80 offset1:200
	v_add_co_u32 v12, vcc_lo, v33, v18
	s_wait_alu 0xfffd
	v_add_co_ci_u32_e32 v13, vcc_lo, v34, v19, vcc_lo
	v_lshlrev_b64_e32 v[14:15], 3, v[0:1]
	v_add_nc_u32_e32 v0, 0x348, v32
	v_add_co_u32 v10, vcc_lo, v33, v10
	s_wait_alu 0xfffd
	v_add_co_ci_u32_e32 v11, vcc_lo, v34, v11, vcc_lo
	s_delay_alu instid0(VALU_DEP_3) | instskip(SKIP_4) | instid1(VALU_DEP_3)
	v_lshlrev_b64_e32 v[16:17], 3, v[0:1]
	v_add_nc_u32_e32 v0, 0x3c0, v32
	v_add_co_u32 v14, vcc_lo, v33, v14
	s_wait_alu 0xfffd
	v_add_co_ci_u32_e32 v15, vcc_lo, v34, v15, vcc_lo
	v_lshlrev_b64_e32 v[18:19], 3, v[0:1]
	v_add_nc_u32_e32 v0, 0x438, v32
	v_add_co_u32 v16, vcc_lo, v33, v16
	s_wait_alu 0xfffd
	v_add_co_ci_u32_e32 v17, vcc_lo, v34, v17, vcc_lo
	s_wait_dscnt 0x1
	s_clause 0x1
	global_store_b64 v[12:13], v[2:3], off
	global_store_b64 v[10:11], v[4:5], off
	s_wait_dscnt 0x0
	s_clause 0x1
	global_store_b64 v[14:15], v[6:7], off
	global_store_b64 v[16:17], v[8:9], off
	v_lshlrev_b64_e32 v[6:7], 3, v[0:1]
	v_add_nc_u32_e32 v0, 0x4b0, v32
	v_add_co_u32 v18, vcc_lo, v33, v18
	s_wait_alu 0xfffd
	v_add_co_ci_u32_e32 v19, vcc_lo, v34, v19, vcc_lo
	s_delay_alu instid0(VALU_DEP_3)
	v_lshlrev_b64_e32 v[10:11], 3, v[0:1]
	v_add_nc_u32_e32 v0, 0x528, v32
	ds_load_2addr_b64 v[2:5], v20 offset0:64 offset1:184
	v_add_co_u32 v20, vcc_lo, v33, v6
	v_add_nc_u32_e32 v8, 0x2400, v28
	v_lshlrev_b64_e32 v[12:13], 3, v[0:1]
	v_add_nc_u32_e32 v0, 0x5a0, v32
	s_wait_alu 0xfffd
	v_add_co_ci_u32_e32 v21, vcc_lo, v34, v7, vcc_lo
	v_add_co_u32 v22, vcc_lo, v33, v10
	s_delay_alu instid0(VALU_DEP_3)
	v_lshlrev_b64_e32 v[14:15], 3, v[0:1]
	v_add_nc_u32_e32 v0, 0x618, v32
	v_add_nc_u32_e32 v10, 0x2c00, v28
	s_wait_alu 0xfffd
	v_add_co_ci_u32_e32 v23, vcc_lo, v34, v11, vcc_lo
	v_add_co_u32 v24, vcc_lo, v33, v12
	v_add_nc_u32_e32 v16, 0x3400, v28
	ds_load_2addr_b64 v[6:9], v8 offset0:48 offset1:168
	v_lshlrev_b64_e32 v[26:27], 3, v[0:1]
	v_add_nc_u32_e32 v0, 0x690, v32
	s_wait_alu 0xfffd
	v_add_co_ci_u32_e32 v25, vcc_lo, v34, v13, vcc_lo
	ds_load_2addr_b64 v[10:13], v10 offset0:32 offset1:152
	v_add_co_u32 v28, vcc_lo, v33, v14
	s_wait_alu 0xfffd
	v_add_co_ci_u32_e32 v29, vcc_lo, v34, v15, vcc_lo
	ds_load_2addr_b64 v[14:17], v16 offset0:16 offset1:136
	v_lshlrev_b64_e32 v[30:31], 3, v[0:1]
	v_add_nc_u32_e32 v0, 0x708, v32
	v_add_co_u32 v26, vcc_lo, v33, v26
	s_wait_alu 0xfffd
	v_add_co_ci_u32_e32 v27, vcc_lo, v34, v27, vcc_lo
	s_delay_alu instid0(VALU_DEP_3) | instskip(SKIP_3) | instid1(VALU_DEP_3)
	v_lshlrev_b64_e32 v[0:1], 3, v[0:1]
	v_add_co_u32 v30, vcc_lo, v33, v30
	s_wait_alu 0xfffd
	v_add_co_ci_u32_e32 v31, vcc_lo, v34, v31, vcc_lo
	v_add_co_u32 v0, vcc_lo, v33, v0
	s_wait_alu 0xfffd
	v_add_co_ci_u32_e32 v1, vcc_lo, v34, v1, vcc_lo
	s_wait_dscnt 0x3
	s_clause 0x1
	global_store_b64 v[18:19], v[2:3], off
	global_store_b64 v[20:21], v[4:5], off
	s_wait_dscnt 0x2
	s_clause 0x1
	global_store_b64 v[22:23], v[6:7], off
	global_store_b64 v[24:25], v[8:9], off
	;; [unrolled: 4-line block ×4, first 2 shown]
.LBB0_25:
	s_nop 0
	s_sendmsg sendmsg(MSG_DEALLOC_VGPRS)
	s_endpgm
	.section	.rodata,"a",@progbits
	.p2align	6, 0x0
	.amdhsa_kernel fft_rtc_fwd_len1920_factors_10_6_16_2_wgs_240_tpt_120_halfLds_sp_ip_CI_unitstride_sbrr_C2R_dirReg
		.amdhsa_group_segment_fixed_size 0
		.amdhsa_private_segment_fixed_size 0
		.amdhsa_kernarg_size 88
		.amdhsa_user_sgpr_count 2
		.amdhsa_user_sgpr_dispatch_ptr 0
		.amdhsa_user_sgpr_queue_ptr 0
		.amdhsa_user_sgpr_kernarg_segment_ptr 1
		.amdhsa_user_sgpr_dispatch_id 0
		.amdhsa_user_sgpr_private_segment_size 0
		.amdhsa_wavefront_size32 1
		.amdhsa_uses_dynamic_stack 0
		.amdhsa_enable_private_segment 0
		.amdhsa_system_sgpr_workgroup_id_x 1
		.amdhsa_system_sgpr_workgroup_id_y 0
		.amdhsa_system_sgpr_workgroup_id_z 0
		.amdhsa_system_sgpr_workgroup_info 0
		.amdhsa_system_vgpr_workitem_id 0
		.amdhsa_next_free_vgpr 117
		.amdhsa_next_free_sgpr 32
		.amdhsa_reserve_vcc 1
		.amdhsa_float_round_mode_32 0
		.amdhsa_float_round_mode_16_64 0
		.amdhsa_float_denorm_mode_32 3
		.amdhsa_float_denorm_mode_16_64 3
		.amdhsa_fp16_overflow 0
		.amdhsa_workgroup_processor_mode 1
		.amdhsa_memory_ordered 1
		.amdhsa_forward_progress 0
		.amdhsa_round_robin_scheduling 0
		.amdhsa_exception_fp_ieee_invalid_op 0
		.amdhsa_exception_fp_denorm_src 0
		.amdhsa_exception_fp_ieee_div_zero 0
		.amdhsa_exception_fp_ieee_overflow 0
		.amdhsa_exception_fp_ieee_underflow 0
		.amdhsa_exception_fp_ieee_inexact 0
		.amdhsa_exception_int_div_zero 0
	.end_amdhsa_kernel
	.text
.Lfunc_end0:
	.size	fft_rtc_fwd_len1920_factors_10_6_16_2_wgs_240_tpt_120_halfLds_sp_ip_CI_unitstride_sbrr_C2R_dirReg, .Lfunc_end0-fft_rtc_fwd_len1920_factors_10_6_16_2_wgs_240_tpt_120_halfLds_sp_ip_CI_unitstride_sbrr_C2R_dirReg
                                        ; -- End function
	.section	.AMDGPU.csdata,"",@progbits
; Kernel info:
; codeLenInByte = 10732
; NumSgprs: 34
; NumVgprs: 117
; ScratchSize: 0
; MemoryBound: 0
; FloatMode: 240
; IeeeMode: 1
; LDSByteSize: 0 bytes/workgroup (compile time only)
; SGPRBlocks: 4
; VGPRBlocks: 14
; NumSGPRsForWavesPerEU: 34
; NumVGPRsForWavesPerEU: 117
; Occupancy: 12
; WaveLimiterHint : 1
; COMPUTE_PGM_RSRC2:SCRATCH_EN: 0
; COMPUTE_PGM_RSRC2:USER_SGPR: 2
; COMPUTE_PGM_RSRC2:TRAP_HANDLER: 0
; COMPUTE_PGM_RSRC2:TGID_X_EN: 1
; COMPUTE_PGM_RSRC2:TGID_Y_EN: 0
; COMPUTE_PGM_RSRC2:TGID_Z_EN: 0
; COMPUTE_PGM_RSRC2:TIDIG_COMP_CNT: 0
	.text
	.p2alignl 7, 3214868480
	.fill 96, 4, 3214868480
	.type	__hip_cuid_ce8a2523bd91d549,@object ; @__hip_cuid_ce8a2523bd91d549
	.section	.bss,"aw",@nobits
	.globl	__hip_cuid_ce8a2523bd91d549
__hip_cuid_ce8a2523bd91d549:
	.byte	0                               ; 0x0
	.size	__hip_cuid_ce8a2523bd91d549, 1

	.ident	"AMD clang version 19.0.0git (https://github.com/RadeonOpenCompute/llvm-project roc-6.4.0 25133 c7fe45cf4b819c5991fe208aaa96edf142730f1d)"
	.section	".note.GNU-stack","",@progbits
	.addrsig
	.addrsig_sym __hip_cuid_ce8a2523bd91d549
	.amdgpu_metadata
---
amdhsa.kernels:
  - .args:
      - .actual_access:  read_only
        .address_space:  global
        .offset:         0
        .size:           8
        .value_kind:     global_buffer
      - .offset:         8
        .size:           8
        .value_kind:     by_value
      - .actual_access:  read_only
        .address_space:  global
        .offset:         16
        .size:           8
        .value_kind:     global_buffer
      - .actual_access:  read_only
        .address_space:  global
        .offset:         24
        .size:           8
        .value_kind:     global_buffer
      - .offset:         32
        .size:           8
        .value_kind:     by_value
      - .actual_access:  read_only
        .address_space:  global
        .offset:         40
        .size:           8
        .value_kind:     global_buffer
      - .actual_access:  read_only
        .address_space:  global
        .offset:         48
        .size:           8
        .value_kind:     global_buffer
      - .offset:         56
        .size:           4
        .value_kind:     by_value
      - .actual_access:  read_only
        .address_space:  global
        .offset:         64
        .size:           8
        .value_kind:     global_buffer
      - .actual_access:  read_only
        .address_space:  global
        .offset:         72
        .size:           8
        .value_kind:     global_buffer
      - .address_space:  global
        .offset:         80
        .size:           8
        .value_kind:     global_buffer
    .group_segment_fixed_size: 0
    .kernarg_segment_align: 8
    .kernarg_segment_size: 88
    .language:       OpenCL C
    .language_version:
      - 2
      - 0
    .max_flat_workgroup_size: 240
    .name:           fft_rtc_fwd_len1920_factors_10_6_16_2_wgs_240_tpt_120_halfLds_sp_ip_CI_unitstride_sbrr_C2R_dirReg
    .private_segment_fixed_size: 0
    .sgpr_count:     34
    .sgpr_spill_count: 0
    .symbol:         fft_rtc_fwd_len1920_factors_10_6_16_2_wgs_240_tpt_120_halfLds_sp_ip_CI_unitstride_sbrr_C2R_dirReg.kd
    .uniform_work_group_size: 1
    .uses_dynamic_stack: false
    .vgpr_count:     117
    .vgpr_spill_count: 0
    .wavefront_size: 32
    .workgroup_processor_mode: 1
amdhsa.target:   amdgcn-amd-amdhsa--gfx1201
amdhsa.version:
  - 1
  - 2
...

	.end_amdgpu_metadata
